;; amdgpu-corpus repo=ROCm/aiter kind=harvested arch=n/a opt=n/a

/root/src/amdgpu-assembly/repos/ROCm__aiter/hsa/gfx942/fmha_v3_bwd/bwd_hd192_fp16_causal_a32_psskddv_group.co:	file format elf64-amdgpu

Disassembly of section .text:

0000000000003e00 <_ZN5aiter44fmha_bwd_hd192_fp16_causal_a32_psskddv_groupE>:
	s_and_b32 s1, s1, 0xffff                                   // 000000003E00: 8601FF01 0000FFFF
	s_load_dwordx2 s[32:33], s[0:1], 0x0                       // 000000003E08: C0060800 00000000
	s_load_dwordx2 s[36:37], s[0:1], 0x10                      // 000000003E10: C0060900 00000010
	s_load_dwordx2 s[40:41], s[0:1], 0x20                      // 000000003E18: C0060A00 00000020
	s_load_dwordx2 s[8:9], s[0:1], 0x30                        // 000000003E20: C0060200 00000030
	s_load_dwordx2 s[12:13], s[0:1], 0x40                      // 000000003E28: C0060300 00000040
	s_load_dwordx2 s[16:17], s[0:1], 0x50                      // 000000003E30: C0060400 00000050
	s_load_dwordx2 s[20:21], s[0:1], 0x60                      // 000000003E38: C0060500 00000060
	s_load_dwordx2 s[24:25], s[0:1], 0x70                      // 000000003E40: C0060600 00000070
	s_load_dwordx2 s[28:29], s[0:1], 0x80                      // 000000003E48: C0060700 00000080
	s_load_dword s47, s[0:1], 0x90                             // 000000003E50: C0020BC0 00000090
	s_load_dword s48, s[0:1], 0xa0                             // 000000003E58: C0020C00 000000A0
	s_load_dword s78, s[0:1], 0xd0                             // 000000003E60: C0021380 000000D0
	s_load_dword s5, s[0:1], 0xf0                              // 000000003E68: C0020140 000000F0
	s_load_dword s44, s[0:1], 0x100                            // 000000003E70: C0020B00 00000100
	s_load_dword s79, s[0:1], 0x110                            // 000000003E78: C00213C0 00000110
	s_load_dword s6, s[0:1], 0x130                             // 000000003E80: C0020180 00000130
	s_load_dword s52, s[0:1], 0x140                            // 000000003E88: C0020D00 00000140
	s_load_dword s50, s[0:1], 0x160                            // 000000003E90: C0020C80 00000160
	s_load_dword s80, s[0:1], 0x190                            // 000000003E98: C0021400 00000190
	s_load_dword s7, s[0:1], 0x1b0                             // 000000003EA0: C00201C0 000001B0
	s_load_dword s81, s[0:1], 0x1c0                            // 000000003EA8: C0021440 000001C0
	s_load_dword s51, s[0:1], 0x1e0                            // 000000003EB0: C0020CC0 000001E0
	s_load_dword s82, s[0:1], 0x1f0                            // 000000003EB8: C0021480 000001F0
	s_load_dword s83, s[0:1], 0x210                            // 000000003EC0: C00214C0 00000210
	s_load_dword s53, s[0:1], 0x230                            // 000000003EC8: C0020D40 00000230
	s_load_dword s49, s[0:1], 0x240                            // 000000003ED0: C0020C40 00000240
	s_load_dwordx2 s[88:89], s[0:1], 0x250                     // 000000003ED8: C0061600 00000250
	s_load_dwordx2 s[92:93], s[0:1], 0x260                     // 000000003EE0: C0061700 00000260
	s_load_dwordx2 s[96:97], s[0:1], 0x270                     // 000000003EE8: C0061800 00000270
	s_load_dwordx2 s[100:101], s[0:1], 0x280                   // 000000003EF0: C0061900 00000280
	v_lshrrev_b32_e32 v1, 10, v0                               // 000000003EF8: 2002008A
	v_lshrrev_b32_e32 v2, 10, v1                               // 000000003EFC: 2004028A
	v_and_b32_e32 v2, 0x3ff, v2                                // 000000003F00: 260404FF 000003FF
	v_and_b32_e32 v1, 0x3ff, v1                                // 000000003F08: 260202FF 000003FF
	v_and_b32_e32 v0, 0x3ff, v0                                // 000000003F10: 260000FF 000003FF
	v_lshrrev_b32_e32 v3, 6, v0                                // 000000003F18: 20060086
	v_and_b32_e32 v0, 63, v0                                   // 000000003F1C: 260000BF
	s_mov_b32 s2, s2                                           // 000000003F20: BE820002
	s_mov_b32 s3, s3                                           // 000000003F24: BE830003
	s_mov_b32 s4, s4                                           // 000000003F28: BE840004
	v_readfirstlane_b32 s46, v3                                // 000000003F2C: 7E5C0503
	s_waitcnt lgkmcnt(0)                                       // 000000003F30: BF8CC07F
	s_mul_i32 s60, s4, 4                                       // 000000003F34: 923C8404
	s_add_u32 s88, s60, s88                                    // 000000003F38: 8058583C
	s_addc_u32 s89, 0, s89                                     // 000000003F3C: 82595980
	s_load_dwordx2 s[84:85], s[88:89], 0x0                     // 000000003F40: C006152C 00000000
	s_add_u32 s96, s60, s96                                    // 000000003F48: 8060603C
	s_addc_u32 s97, 0, s97                                     // 000000003F4C: 82616180
	s_load_dword s90, s[96:97], 0x0                            // 000000003F50: C00216B0 00000000
	s_add_u32 s92, s60, s92                                    // 000000003F58: 805C5C3C
	s_addc_u32 s93, 0, s93                                     // 000000003F5C: 825D5D80
	s_load_dwordx2 s[86:87], s[92:93], 0x0                     // 000000003F60: C00615AE 00000000
	s_add_u32 s100, s60, s100                                  // 000000003F68: 8064643C
	s_addc_u32 s101, 0, s101                                   // 000000003F6C: 82656580
	s_load_dword s91, s[100:101], 0x0                          // 000000003F70: C00216F2 00000000
	s_mov_b32 s11, 0x20000                                     // 000000003F78: BE8B00FF 00020000
	s_mov_b32 s15, 0x20000                                     // 000000003F80: BE8F00FF 00020000
	s_mov_b32 s19, 0x20000                                     // 000000003F88: BE9300FF 00020000
	s_mov_b32 s23, 0x20000                                     // 000000003F90: BE9700FF 00020000
	s_mov_b32 s27, 0x20000                                     // 000000003F98: BE9B00FF 00020000
	s_mov_b32 s31, 0x20000                                     // 000000003FA0: BE9F00FF 00020000
	s_mov_b32 s35, 0x20000                                     // 000000003FA8: BEA300FF 00020000
	s_mov_b32 s39, 0x20000                                     // 000000003FB0: BEA700FF 00020000
	s_mov_b32 s43, 0x20000                                     // 000000003FB8: BEAB00FF 00020000
	s_and_b32 s9, s9, 0xffff                                   // 000000003FC0: 8609FF09 0000FFFF
	s_and_b32 s13, s13, 0xffff                                 // 000000003FC8: 860DFF0D 0000FFFF
	s_and_b32 s17, s17, 0xffff                                 // 000000003FD0: 8611FF11 0000FFFF
	s_and_b32 s21, s21, 0xffff                                 // 000000003FD8: 8615FF15 0000FFFF
	s_and_b32 s25, s25, 0xffff                                 // 000000003FE0: 8619FF19 0000FFFF
	s_and_b32 s29, s29, 0xffff                                 // 000000003FE8: 861DFF1D 0000FFFF
	s_and_b32 s33, s33, 0xffff                                 // 000000003FF0: 8621FF21 0000FFFF
	s_and_b32 s37, s37, 0xffff                                 // 000000003FF8: 8625FF25 0000FFFF
	s_and_b32 s41, s41, 0xffff                                 // 000000004000: 8629FF29 0000FFFF
	s_or_b32 s9, s9, 0x40000                                   // 000000004008: 8709FF09 00040000
	s_or_b32 s13, s13, 0x40000                                 // 000000004010: 870DFF0D 00040000
	s_or_b32 s17, s17, 0x40000                                 // 000000004018: 8711FF11 00040000
	s_or_b32 s21, s21, 0x40000                                 // 000000004020: 8715FF15 00040000
	s_or_b32 s25, s25, 0x40000                                 // 000000004028: 8719FF19 00040000
	s_or_b32 s29, s29, 0x40000                                 // 000000004030: 871DFF1D 00040000
	s_or_b32 s33, s33, 0x40000                                 // 000000004038: 8721FF21 00040000
	s_or_b32 s37, s37, 0x40000                                 // 000000004040: 8725FF25 00040000
	s_or_b32 s41, s41, 0x40000                                 // 000000004048: 8729FF29 00040000
	v_accvgpr_write_b32 a143, 0                                // 000000004050: D3D9408F 18000080
	v_mov_b32_e32 v209, 0                                      // 000000004058: 7FA20280
	s_mov_b32 s71, s3                                          // 00000000405C: BEC70003
	v_cvt_f32_u32_e32 v28, s44                                 // 000000004060: 7E380C2C
	s_sub_i32 s60, 0, s44                                      // 000000004064: 81BC2C80
	v_rcp_iflag_f32_e32 v28, v28                               // 000000004068: 7E38471C
	s_nop 0                                                    // 00000000406C: BF800000
	v_mul_f32_e32 v28, 0x4f7ffffe, v28                         // 000000004070: 0A3838FF 4F7FFFFE
	v_cvt_u32_f32_e32 v28, v28                                 // 000000004078: 7E380F1C
	v_mul_lo_u32 v29, s60, v28                                 // 00000000407C: D285001D 0002383C
	v_mul_hi_u32 v29, v28, v29                                 // 000000004084: D286001D 00023B1C
	v_add_u32_e32 v28, v28, v29                                // 00000000408C: 68383B1C
	v_mul_hi_u32 v28, s71, v28                                 // 000000004090: D286001C 00023847
	v_mul_lo_u32 v29, v28, s44                                 // 000000004098: D285001D 0000591C
	v_sub_u32_e32 v31, s71, v29                                // 0000000040A0: 6A3E3A47
	v_add_u32_e32 v30, 1, v28                                  // 0000000040A4: 683C3881
	v_cmp_le_u32_e32 vcc, s44, v31                             // 0000000040A8: 7D963E2C
	v_subrev_u32_e32 v29, s44, v31                             // 0000000040AC: 6C3A3E2C
	s_nop 0                                                    // 0000000040B0: BF800000
	v_cndmask_b32_e32 v28, v28, v30, vcc                       // 0000000040B4: 00383D1C
	v_cndmask_b32_e32 v31, v31, v29, vcc                       // 0000000040B8: 003E3B1F
	v_add_u32_e32 v29, 1, v28                                  // 0000000040BC: 683A3881
	v_cmp_le_u32_e32 vcc, s44, v31                             // 0000000040C0: 7D963E2C
	s_nop 1                                                    // 0000000040C4: BF800001
	v_cndmask_b32_e32 v31, v28, v29, vcc                       // 0000000040C8: 003E3B1C
	s_nop 3                                                    // 0000000040CC: BF800003
	v_readfirstlane_b32 s45, v31                               // 0000000040D0: 7E5A051F
	s_nop 3                                                    // 0000000040D4: BF800003
	s_waitcnt lgkmcnt(0)                                       // 0000000040D8: BF8CC07F
	s_mul_i32 s61, s2, 0x80                                    // 0000000040DC: 923DFF02 00000080
	s_sub_i32 s87, s87, s86                                    // 0000000040E4: 81D75657
	s_mov_b32 s86, s91                                         // 0000000040E8: BED6005B
	s_sub_i32 s85, s85, s84                                    // 0000000040EC: 81D55455
	s_mov_b32 s84, s90                                         // 0000000040F0: BED4005A
	s_cmp_gt_i32 s85, 0                                        // 0000000040F4: BF028055
	s_cbranch_scc0 label_1067                                  // 0000000040F8: BF840FA8
	s_mov_b32 s59, 0                                           // 0000000040FC: BEBB0080
	s_mov_b32 s58, s85                                         // 000000004100: BEBA0055
	s_cmp_ge_i32 s61, s87                                      // 000000004104: BF03573D
	s_cbranch_scc1 label_1067                                  // 000000004108: BF850FA4
	s_mul_i32 s61, s45, s79                                    // 00000000410C: 923D4F2D
	s_mov_b32 s54, s61                                         // 000000004110: BEB6003D
	s_add_u32 s12, s54, s12                                    // 000000004114: 800C0C36
	s_addc_u32 s13, 0, s13                                     // 000000004118: 820D0D80
	s_mul_i32 s60, s86, s6                                     // 00000000411C: 923C0656
	s_mul_hi_u32 s61, s86, s6                                  // 000000004120: 963D0656
	s_and_b32 s61, s61, 0xffff                                 // 000000004124: 863DFF3D 0000FFFF
	s_add_u32 s12, s12, s60                                    // 00000000412C: 800C3C0C
	s_addc_u32 s13, s13, s61                                   // 000000004130: 820D3D0D
	s_mul_i32 s61, s45, s80                                    // 000000004134: 923D502D
	s_mov_b32 s54, s61                                         // 000000004138: BEB6003D
	s_add_u32 s16, s54, s16                                    // 00000000413C: 80101036
	s_addc_u32 s17, 0, s17                                     // 000000004140: 82111180
	s_mul_i32 s60, s86, s7                                     // 000000004144: 923C0756
	s_mul_hi_u32 s61, s86, s7                                  // 000000004148: 963D0756
	s_and_b32 s61, s61, 0xffff                                 // 00000000414C: 863DFF3D 0000FFFF
	s_add_u32 s16, s16, s60                                    // 000000004154: 80103C10
	s_addc_u32 s17, s17, s61                                   // 000000004158: 82113D11
	s_mul_i32 s61, s3, s78                                     // 00000000415C: 923D4E03
	s_mov_b32 s55, s61                                         // 000000004160: BEB7003D
	s_add_u32 s8, s55, s8                                      // 000000004164: 80080837
	s_addc_u32 s9, 0, s9                                       // 000000004168: 82090980
	s_mul_i32 s60, s84, s5                                     // 00000000416C: 923C0554
	s_mul_hi_u32 s61, s84, s5                                  // 000000004170: 963D0554
	s_and_b32 s61, s61, 0xffff                                 // 000000004174: 863DFF3D 0000FFFF
	s_add_u32 s8, s8, s60                                      // 00000000417C: 80083C08
	s_addc_u32 s9, s9, s61                                     // 000000004180: 82093D09
	s_mul_i32 s61, s3, s81                                     // 000000004184: 923D5103
	s_mov_b32 s56, s61                                         // 000000004188: BEB8003D
	s_add_u32 s20, s56, s20                                    // 00000000418C: 80141438
	s_addc_u32 s21, 0, s21                                     // 000000004190: 82151580
	s_mul_i32 s60, s84, s51                                    // 000000004194: 923C3354
	s_mul_hi_u32 s61, s84, s51                                 // 000000004198: 963D3354
	s_and_b32 s61, s61, 0xffff                                 // 00000000419C: 863DFF3D 0000FFFF
	s_add_u32 s20, s20, s60                                    // 0000000041A4: 80143C14
	s_addc_u32 s21, s21, s61                                   // 0000000041A8: 82153D15
	s_mul_i32 s62, 4, s84                                      // 0000000041AC: 923E5484
	s_mul_i32 s61, s3, s49                                     // 0000000041B0: 923D3103
	s_add_u32 s65, s61, s62                                    // 0000000041B4: 80413E3D
	s_mov_b32 s26, s85                                         // 0000000041B8: BE9A0055
	s_mov_b32 s30, s85                                         // 0000000041BC: BE9E0055
	s_add_u32 s24, s65, s24                                    // 0000000041C0: 80181841
	s_addc_u32 s25, 0, s25                                     // 0000000041C4: 82191980
	s_add_u32 s28, s65, s28                                    // 0000000041C8: 801C1C41
	s_addc_u32 s29, 0, s29                                     // 0000000041CC: 821D1D80
	s_mul_i32 s61, s3, s82                                     // 0000000041D0: 923D5203
	s_mul_i32 s62, s86, s52                                    // 0000000041D4: 923E3456
	s_add_u32 s60, s61, s62                                    // 0000000041D8: 803C3E3D
	s_mul_hi_u32 s61, s86, s52                                 // 0000000041DC: 963D3456
	s_and_b32 s61, s61, 0xffff                                 // 0000000041E0: 863DFF3D 0000FFFF
	s_add_u32 s36, s60, s36                                    // 0000000041E8: 8024243C
	s_addc_u32 s37, s61, s37                                   // 0000000041EC: 8225253D
	s_mul_i32 s60, s87, s52                                    // 0000000041F0: 923C3457
	s_lshr_b32 s60, s60, 2                                     // 0000000041F4: 8F3C823C
	s_mov_b32 s38, s60                                         // 0000000041F8: BEA6003C
	s_mul_i32 s61, s3, s83                                     // 0000000041FC: 923D5303
	s_mul_i32 s62, s86, s53                                    // 000000004200: 923E3556
	s_add_u32 s60, s61, s62                                    // 000000004204: 803C3E3D
	s_mul_hi_u32 s61, s86, s53                                 // 000000004208: 963D3556
	s_and_b32 s61, s61, 0xffff                                 // 00000000420C: 863DFF3D 0000FFFF
	s_add_u32 s40, s60, s40                                    // 000000004214: 8028283C
	s_addc_u32 s41, s61, s41                                   // 000000004218: 8229293D
	s_mul_i32 s60, s87, s53                                    // 00000000421C: 923C3557
	s_lshr_b32 s60, s60, 2                                     // 000000004220: 8F3C823C
	s_mov_b32 s42, s60                                         // 000000004224: BEAA003C
	s_mul_i32 s60, s50, s65                                    // 000000004228: 923C4132
	s_mul_hi_u32 s62, s50, s65                                 // 00000000422C: 963E4132
	s_and_b32 s62, s62, 0xffff                                 // 000000004230: 863EFF3E 0000FFFF
	s_add_u32 s32, s60, s32                                    // 000000004238: 8020203C
	s_addc_u32 s33, s62, s33                                   // 00000000423C: 8221213E
	s_mul_i32 s60, s50, s85                                    // 000000004240: 923C5532
	s_lshl_b32 s60, s60, 2                                     // 000000004244: 8E3C823C
	s_mov_b32 s34, s60                                         // 000000004248: BEA2003C
	s_mov_b32 s90, s8                                          // 00000000424C: BEDA0008
	s_mov_b32 s94, s12                                         // 000000004250: BEDE000C
	s_mov_b32 s96, s16                                         // 000000004254: BEE00010
	s_mov_b32 s98, s20                                         // 000000004258: BEE20014
	s_mov_b32 s91, s9                                          // 00000000425C: BEDB0009
	s_mov_b32 s95, s13                                         // 000000004260: BEDF000D
	s_mov_b32 s97, s17                                         // 000000004264: BEE10011
	s_mov_b32 s99, s21                                         // 000000004268: BEE30015
	s_add_u32 s71, 63, s87                                     // 00000000426C: 804757BF
	s_mov_b32 s74, 64                                          // 000000004270: BECA00C0
	v_cvt_f32_u32_e32 v28, s74                                 // 000000004274: 7E380C4A
	s_sub_i32 s60, 0, s74                                      // 000000004278: 81BC4A80
	v_rcp_iflag_f32_e32 v28, v28                               // 00000000427C: 7E38471C
	s_nop 0                                                    // 000000004280: BF800000
	v_mul_f32_e32 v28, 0x4f7ffffe, v28                         // 000000004284: 0A3838FF 4F7FFFFE
	v_cvt_u32_f32_e32 v28, v28                                 // 00000000428C: 7E380F1C
	v_mul_lo_u32 v29, s60, v28                                 // 000000004290: D285001D 0002383C
	v_mul_hi_u32 v29, v28, v29                                 // 000000004298: D286001D 00023B1C
	v_add_u32_e32 v28, v28, v29                                // 0000000042A0: 68383B1C
	v_mul_hi_u32 v28, s71, v28                                 // 0000000042A4: D286001C 00023847
	v_mul_lo_u32 v29, v28, s74                                 // 0000000042AC: D285001D 0000951C
	v_sub_u32_e32 v31, s71, v29                                // 0000000042B4: 6A3E3A47
	v_add_u32_e32 v30, 1, v28                                  // 0000000042B8: 683C3881
	v_cmp_le_u32_e32 vcc, s74, v31                             // 0000000042BC: 7D963E4A
	v_subrev_u32_e32 v29, s74, v31                             // 0000000042C0: 6C3A3E4A
	s_nop 0                                                    // 0000000042C4: BF800000
	v_cndmask_b32_e32 v28, v28, v30, vcc                       // 0000000042C8: 00383D1C
	v_cndmask_b32_e32 v31, v31, v29, vcc                       // 0000000042CC: 003E3B1F
	v_add_u32_e32 v29, 1, v28                                  // 0000000042D0: 683A3881
	v_cmp_le_u32_e32 vcc, s74, v31                             // 0000000042D4: 7D963E4A
	s_nop 1                                                    // 0000000042D8: BF800001
	v_cndmask_b32_e32 v31, v28, v29, vcc                       // 0000000042DC: 003E3B1C
	s_nop 3                                                    // 0000000042E0: BF800003
	v_readfirstlane_b32 s77, v31                               // 0000000042E4: 7E9A051F
	s_nop 3                                                    // 0000000042E8: BF800003
	v_mov_b32_e32 v28, s47                                     // 0000000042EC: 7E38022F
	v_mul_f32_e32 v28, s48, v28                                // 0000000042F0: 0A383830
	s_mov_b32 s75, 0                                           // 0000000042F4: BECB0080
	s_mov_b32 s76, 1                                           // 0000000042F8: BECC0081
	s_mov_b32 s63, 0x5040100                                   // 0000000042FC: BEBF00FF 05040100
	s_mov_b32 s64, 0x7060302                                   // 000000004304: BEC000FF 07060302
	v_readfirstlane_b32 s57, v28                               // 00000000430C: 7E72051C
	v_mov_b32_e32 v30, 0x3020706                               // 000000004310: 7E3C02FF 03020706
	v_mov_b32_e32 v28, s63                                     // 000000004318: 7E38023F
	v_and_b32_e32 v29, 1, v0                                   // 00000000431C: 263A0081
	v_cmp_eq_u32_e32 vcc, 1, v29                               // 000000004320: 7D943A81
	s_mul_i32 s60, s50, 64                                     // 000000004324: 923CC032
	s_mov_b32 s67, s60                                         // 000000004328: BEC3003C
	v_cndmask_b32_e32 v15, v28, v30, vcc                       // 00000000432C: 001E3D1C
	s_cmp_lt_u32 s46, 2                                        // 000000004330: BF0A822E
	s_cselect_b32 s24, s24, s28                                // 000000004334: 85181C18
	s_cselect_b32 s25, s25, s29                                // 000000004338: 85191D19
	s_cselect_b32 s26, s26, s30                                // 00000000433C: 851A1E1A
	s_cselect_b32 s27, s27, s31                                // 000000004340: 851B1F1B
	s_lshr_b32 s60, s46, 1                                     // 000000004344: 8F3C812E
	s_lshl_b32 s60, s60, 8                                     // 000000004348: 8E3C883C
	s_add_u32 s78, 0x9f00, s60                                 // 00000000434C: 804E3CFF 00009F00
	s_add_u32 s79, 0x200, s78                                  // 000000004354: 804F4EFF 00000200
	s_lshl_b32 s60, s2, 1                                      // 00000000435C: 8E3C8102
	s_add_u32 s60, 1, s60                                      // 000000004360: 803C3C81
	s_cmp_ge_i32 s60, s77                                      // 000000004364: BF034D3C
	s_cselect_b32 s76, s76, 2                                  // 000000004368: 854C824C

000000000000436c <label_015B>:
	s_mov_b32 m0, s78                                          // 00000000436C: BEFC004E
	s_mov_b32 s66, 0                                           // 000000004370: BEC20080
	v_mov_b32_e32 v159, 0xff800000                             // 000000004374: 7F3E02FF FF800000
	s_mov_b32 s74, 0                                           // 00000000437C: BECA0080
	s_mul_i32 s68, 4, s5                                       // 000000004380: 92440584
	s_mul_i32 s100, 4, s51                                     // 000000004384: 92643384
	s_mov_b32 s69, 16                                          // 000000004388: BEC50090
	s_mul_i32 s59, 64, s2                                      // 00000000438C: 923B02C0
	s_mul_i32 s54, s6, s59                                     // 000000004390: 92363B06
	s_sub_i32 s61, s87, s59                                    // 000000004394: 81BD3B57
	s_mul_i32 s62, s6, s61                                     // 000000004398: 923E3D06
	s_lshr_b32 s62, s62, 2                                     // 00000000439C: 8F3E823E
	s_mov_b32 s14, s62                                         // 0000000043A0: BE8E003E
	s_add_u32 s12, s54, s94                                    // 0000000043A4: 800C5E36
	s_addc_u32 s13, 0, s95                                     // 0000000043A8: 820D5F80
	s_mul_i32 s54, s7, s59                                     // 0000000043AC: 92363B07
	s_mul_i32 s62, s7, s61                                     // 0000000043B0: 923E3D07
	s_lshr_b32 s62, s62, 2                                     // 0000000043B4: 8F3E823E
	s_mov_b32 s18, s62                                         // 0000000043B8: BE92003E
	s_add_u32 s16, s54, s96                                    // 0000000043BC: 80106036
	s_addc_u32 s17, 0, s97                                     // 0000000043C0: 82116180
	s_mov_b32 s71, s6                                          // 0000000043C4: BEC70006
	v_lshrrev_b32_e32 v28, 4, v0                               // 0000000043C8: 20380084
	v_and_b32_e32 v29, 1, v28                                  // 0000000043CC: 263A3881
	v_lshlrev_b32_e32 v29, 1, v29                              // 0000000043D0: 243A3A81
	v_mul_i32_i24_e32 v29, s71, v29                            // 0000000043D4: 0C3A3A47
	v_and_b32_e32 v30, 2, v28                                  // 0000000043D8: 263C3882
	v_lshlrev_b32_e32 v30, 5, v30                              // 0000000043DC: 243C3C85
	v_add_u32_e32 v29, v30, v29                                // 0000000043E0: 683A3B1E
	v_and_b32_e32 v28, 15, v0                                  // 0000000043E4: 2638008F
	v_lshlrev_b32_e32 v28, 2, v28                              // 0000000043E8: 24383882
	v_add_u32_e32 v1, v28, v29                                 // 0000000043EC: 68023B1C
	s_mul_i32 s60, s46, s71                                    // 0000000043F0: 923C472E
	s_mul_i32 s60, s60, 4                                      // 0000000043F4: 923C843C
	v_add_u32_e32 v1, s60, v1                                  // 0000000043F8: 6802023C
	v_add_u32_e32 v2, s71, v1                                  // 0000000043FC: 68040247
	s_mov_b32 s71, s7                                          // 000000004400: BEC70007
	v_lshrrev_b32_e32 v28, 4, v0                               // 000000004404: 20380084
	v_and_b32_e32 v29, 1, v28                                  // 000000004408: 263A3881
	v_lshlrev_b32_e32 v29, 1, v29                              // 00000000440C: 243A3A81
	v_mul_i32_i24_e32 v29, s71, v29                            // 000000004410: 0C3A3A47
	v_and_b32_e32 v30, 2, v28                                  // 000000004414: 263C3882
	v_lshlrev_b32_e32 v30, 5, v30                              // 000000004418: 243C3C85
	v_add_u32_e32 v29, v30, v29                                // 00000000441C: 683A3B1E
	v_and_b32_e32 v28, 15, v0                                  // 000000004420: 2638008F
	v_lshlrev_b32_e32 v28, 2, v28                              // 000000004424: 24383882
	v_add_u32_e32 v208, v28, v29                               // 000000004428: 69A03B1C
	s_mul_i32 s60, s46, s71                                    // 00000000442C: 923C472E
	s_mul_i32 s60, s60, 4                                      // 000000004430: 923C843C
	v_add_u32_e32 v208, s60, v208                              // 000000004434: 69A1A03C
	v_add_u32_e32 v209, s71, v208                              // 000000004438: 69A3A047
	v_lshrrev_b32_e32 v1, 2, v1                                // 00000000443C: 20020282
	v_lshrrev_b32_e32 v2, 2, v2                                // 000000004440: 20040482
	v_lshrrev_b32_e32 v208, 2, v208                            // 000000004444: 21A1A082
	v_lshrrev_b32_e32 v209, 2, v209                            // 000000004448: 21A3A282
	s_mov_b32 s70, s52                                         // 00000000444C: BEC60034
	v_lshrrev_b32_e32 v28, 3, v0                               // 000000004450: 20380083
	v_mul_i32_i24_e32 v3, s70, v28                             // 000000004454: 0C063846
	v_lshrrev_b32_e32 v3, 2, v3                                // 000000004458: 20060682
	v_and_b32_e32 v28, 7, v0                                   // 00000000445C: 26380087
	v_lshlrev_b32_e32 v29, 2, v28                              // 000000004460: 243A3882
	v_add_u32_e32 v3, v29, v3                                  // 000000004464: 6806071D
	s_mul_i32 s60, 16, s70                                     // 000000004468: 923C4690
	s_mul_i32 s60, s46, s60                                    // 00000000446C: 923C3C2E
	v_lshlrev_b32_e32 v3, 2, v3                                // 000000004470: 24060682
	v_add_u32_e32 v3, s60, v3                                  // 000000004474: 6806063C
	s_mul_i32 s60, 8, s70                                      // 000000004478: 923C4688
	v_add_u32_e32 v4, s60, v3                                  // 00000000447C: 6808063C
	s_mul_i32 s60, s52, s59                                    // 000000004480: 923C3B34
	v_add_u32_e32 v3, s60, v3                                  // 000000004484: 6806063C
	v_lshrrev_b32_e32 v3, 2, v3                                // 000000004488: 20060682
	v_add_u32_e32 v4, s60, v4                                  // 00000000448C: 6808083C
	v_lshrrev_b32_e32 v4, 2, v4                                // 000000004490: 20080882
	s_mov_b32 s70, s53                                         // 000000004494: BEC60035
	v_lshrrev_b32_e32 v28, 3, v0                               // 000000004498: 20380083
	v_mul_i32_i24_e32 v5, s70, v28                             // 00000000449C: 0C0A3846
	v_lshrrev_b32_e32 v5, 2, v5                                // 0000000044A0: 200A0A82
	v_and_b32_e32 v28, 7, v0                                   // 0000000044A4: 26380087
	v_lshlrev_b32_e32 v29, 2, v28                              // 0000000044A8: 243A3882
	v_add_u32_e32 v5, v29, v5                                  // 0000000044AC: 680A0B1D
	s_mul_i32 s60, 16, s70                                     // 0000000044B0: 923C4690
	s_mul_i32 s60, s46, s60                                    // 0000000044B4: 923C3C2E
	v_lshlrev_b32_e32 v5, 2, v5                                // 0000000044B8: 240A0A82
	v_add_u32_e32 v5, s60, v5                                  // 0000000044BC: 680A0A3C
	s_mul_i32 s60, 8, s70                                      // 0000000044C0: 923C4688
	v_add_u32_e32 v6, s60, v5                                  // 0000000044C4: 680C0A3C
	s_mul_i32 s60, s53, s59                                    // 0000000044C8: 923C3B35
	v_add_u32_e32 v5, s60, v5                                  // 0000000044CC: 680A0A3C
	v_lshrrev_b32_e32 v5, 2, v5                                // 0000000044D0: 200A0A82
	v_add_u32_e32 v6, s60, v6                                  // 0000000044D4: 680C0C3C
	v_lshrrev_b32_e32 v6, 2, v6                                // 0000000044D8: 200C0C82
	s_cmp_ge_i32 s59, s85                                      // 0000000044DC: BF03553B
	s_cselect_b32 s59, s85, s59                                // 0000000044E0: 853B3B55
	s_add_u32 s73, 16, s59                                     // 0000000044E4: 80493B90
	s_mul_i32 s55, s5, s59                                     // 0000000044E8: 92373B05
	s_sub_i32 s61, s85, s59                                    // 0000000044EC: 81BD3B55
	s_mul_i32 s62, s5, s61                                     // 0000000044F0: 923E3D05
	s_lshr_b32 s62, s62, 2                                     // 0000000044F4: 8F3E823E
	s_mov_b32 s10, s62                                         // 0000000044F8: BE8A003E
	s_add_u32 s8, s55, s90                                     // 0000000044FC: 80085A37
	s_addc_u32 s9, 0, s91                                      // 000000004500: 82095B80
	s_mul_i32 s56, s51, s59                                    // 000000004504: 92383B33
	s_mul_i32 s62, s51, s61                                    // 000000004508: 923E3D33
	s_lshr_b32 s62, s62, 2                                     // 00000000450C: 8F3E823E
	s_mov_b32 s22, s62                                         // 000000004510: BE96003E
	s_add_u32 s20, s56, s98                                    // 000000004514: 80146238
	s_addc_u32 s21, 0, s99                                     // 000000004518: 82156380
	s_mul_i32 s65, s59, 4                                      // 00000000451C: 9241843B
	v_and_b32_e32 v9, 15, v0                                   // 000000004520: 2612008F
	v_lshlrev_b32_e32 v9, 2, v9                                // 000000004524: 24121282
	v_add_u32_e32 v9, s65, v9                                  // 000000004528: 68121241
	v_lshrrev_b32_e32 v9, 2, v9                                // 00000000452C: 20121282
	v_lshrrev_b32_e32 v28, 5, v0                               // 000000004530: 20380085
	v_mul_i32_i24_e64 v29, s50, 2                              // 000000004534: D106001D 00010432
	v_mul_i32_i24_e32 v7, v29, v28                             // 00000000453C: 0C0E391D
	v_and_b32_e32 v28, 31, v0                                  // 000000004540: 2638009F
	v_add_u32_e32 v7, v28, v7                                  // 000000004544: 680E0F1C
	s_mul_i32 s60, 4, s50                                      // 000000004548: 923C3284
	s_mul_i32 s60, s46, s60                                    // 00000000454C: 923C3C2E
	v_add_u32_e32 v7, s60, v7                                  // 000000004550: 680E0E3C
	v_lshlrev_b32_e32 v7, 2, v7                                // 000000004554: 240E0E82
	v_mul_i32_i24_e32 v29, 2, v29                              // 000000004558: 0C3A3A82
	v_add_u32_e32 v8, v29, v7                                  // 00000000455C: 68100F1D
	s_mul_i32 s60, s50, s65                                    // 000000004560: 923C4132
	v_add_u32_e32 v7, s60, v7                                  // 000000004564: 680E0E3C
	v_add_u32_e32 v8, s60, v8                                  // 000000004568: 6810103C
	v_lshrrev_b32_e32 v28, 2, v0                               // 00000000456C: 20380082
	v_and_b32_e32 v29, 3, v28                                  // 000000004570: 263A3883
	v_lshrrev_b32_e32 v30, 3, v28                              // 000000004574: 203C3883
	v_lshlrev_b32_e32 v30, 2, v30                              // 000000004578: 243C3C82
	v_add_u32_e32 v28, v30, v29                                // 00000000457C: 68383B1E
	v_mov_b32_e32 v30, s50                                     // 000000004580: 7E3C0232
	v_mov_b32_e32 v29, 0x80                                    // 000000004584: 7E3A02FF 00000080
	v_sub_u32_e32 v30, v30, v29                                // 00000000458C: 6A3C3B1E
	v_lshrrev_b32_e32 v30, 3, v30                              // 000000004590: 203C3C83
	v_cmp_lt_u32_e64 s[80:81], v28, v30                        // 000000004594: D0C90050 00023D1C
	v_and_b32_e32 v28, 31, v0                                  // 00000000459C: 2638009F
	v_lshrrev_b32_e32 v28, 3, v28                              // 0000000045A0: 20383883
	v_mov_b32_e32 v29, s50                                     // 0000000045A4: 7E3A0232
	v_mov_b32_e32 v30, 0x80                                    // 0000000045A8: 7E3C02FF 00000080
	v_sub_u32_e32 v29, v29, v30                                // 0000000045B0: 6A3A3D1D
	v_lshrrev_b32_e32 v29, 3, v29                              // 0000000045B4: 203A3A83
	v_cmp_lt_u32_e64 s[82:83], v28, v29                        // 0000000045B8: D0C90052 00023B1C
	v_add_u32_e32 v28, 4, v28                                  // 0000000045C0: 68383884
	v_cmp_lt_u32_e64 s[92:93], v28, v29                        // 0000000045C4: D0C9005C 00023B1C
	s_mul_i32 s60, 64, s2                                      // 0000000045CC: 923C02C0
	s_sub_i32 s84, s87, s60                                    // 0000000045D0: 81D43C57
	v_and_b32_e32 v28, 31, v0                                  // 0000000045D4: 2638009F
	v_lshrrev_b32_e32 v28, 1, v28                              // 0000000045D8: 20383881
	v_and_b32_e32 v29, 1, v28                                  // 0000000045DC: 263A3881
	v_lshlrev_b32_e32 v29, 4, v29                              // 0000000045E0: 243A3A84
	v_and_b32_e32 v30, 2, v28                                  // 0000000045E4: 263C3882
	v_lshlrev_b32_e32 v30, 2, v30                              // 0000000045E8: 243C3C82
	v_add_u32_e32 v29, v30, v29                                // 0000000045EC: 683A3B1E
	v_and_b32_e32 v30, 12, v28                                 // 0000000045F0: 263C388C
	v_lshrrev_b32_e32 v30, 1, v30                              // 0000000045F4: 203C3C81
	v_add_u32_e32 v29, v30, v29                                // 0000000045F8: 683A3B1E
	v_lshrrev_b32_e32 v28, 5, v0                               // 0000000045FC: 20380085
	v_mul_i32_i24_e32 v30, 0x80, v28                           // 000000004600: 0C3C38FF 00000080
	v_add_u32_e32 v29, v30, v29                                // 000000004608: 683A3B1E
	v_and_b32_e32 v30, 1, v0                                   // 00000000460C: 263C0081
	v_add_u32_e32 v11, v30, v29                                // 000000004610: 68163B1E
	s_mul_i32 s60, s46, 32                                     // 000000004614: 923CA02E
	v_add_u32_e32 v11, s60, v11                                // 000000004618: 6816163C
	v_lshlrev_b32_e32 v11, 2, v11                              // 00000000461C: 24161682
	v_lshrrev_b32_e32 v28, 4, v0                               // 000000004620: 20380084
	v_and_b32_e32 v29, 1, v28                                  // 000000004624: 263A3881
	v_lshlrev_b32_e32 v29, 4, v29                              // 000000004628: 243A3A84
	v_and_b32_e32 v30, 2, v28                                  // 00000000462C: 263C3882
	v_mul_i32_i24_e32 v30, 4, v30                              // 000000004630: 0C3C3C84
	v_add_u32_e32 v29, v30, v29                                // 000000004634: 683A3B1E
	v_and_b32_e32 v28, 15, v0                                  // 000000004638: 2638008F
	v_lshrrev_b32_e32 v30, 2, v28                              // 00000000463C: 203C3882
	v_lshlrev_b32_e32 v30, 5, v30                              // 000000004640: 243C3C85
	v_add_u32_e32 v29, v30, v29                                // 000000004644: 683A3B1E
	v_and_b32_e32 v28, 3, v0                                   // 000000004648: 26380083
	v_and_b32_e32 v30, 1, v28                                  // 00000000464C: 263C3881
	v_mul_i32_i24_e32 v30, 0x108, v30                          // 000000004650: 0C3C3CFF 00000108
	v_add_u32_e32 v29, v30, v29                                // 000000004658: 683A3B1E
	v_and_b32_e32 v30, 2, v28                                  // 00000000465C: 263C3882
	v_lshlrev_b32_e32 v30, 1, v30                              // 000000004660: 243C3C81
	v_add_u32_e32 v10, v30, v29                                // 000000004664: 68143B1E
	v_lshlrev_b32_e32 v10, 2, v10                              // 000000004668: 24141482
	s_mul_i32 s60, s46, 0x1980                                 // 00000000466C: 923CFF2E 00001980
	v_add_u32_e32 v22, s60, v10                                // 000000004674: 682C143C
	v_lshrrev_b32_e32 v28, 5, v0                               // 000000004678: 20380085
	v_mul_i32_i24_e32 v13, 0x80, v28                           // 00000000467C: 0C1A38FF 00000080
	v_and_b32_e32 v28, 31, v0                                  // 000000004684: 2638009F
	v_and_b32_e32 v29, 7, v28                                  // 000000004688: 263A3887
	v_and_b32_e32 v30, 1, v29                                  // 00000000468C: 263C3A81
	v_lshlrev_b32_e32 v30, 2, v30                              // 000000004690: 243C3C82
	v_add_u32_e32 v13, v30, v13                                // 000000004694: 681A1B1E
	v_and_b32_e32 v30, 2, v29                                  // 000000004698: 263C3A82
	v_lshlrev_b32_e32 v30, 3, v30                              // 00000000469C: 243C3C83
	v_add_u32_e32 v13, v30, v13                                // 0000000046A0: 681A1B1E
	v_and_b32_e32 v30, 4, v29                                  // 0000000046A4: 263C3A84
	v_lshlrev_b32_e32 v30, 1, v30                              // 0000000046A8: 243C3C81
	v_add_u32_e32 v13, v30, v13                                // 0000000046AC: 681A1B1E
	v_lshrrev_b32_e32 v29, 3, v28                              // 0000000046B0: 203A3883
	v_and_b32_e32 v30, 1, v29                                  // 0000000046B4: 263C3A81
	v_lshlrev_b32_e32 v30, 1, v30                              // 0000000046B8: 243C3C81
	v_add_u32_e32 v13, v30, v13                                // 0000000046BC: 681A1B1E
	v_and_b32_e32 v30, 2, v29                                  // 0000000046C0: 263C3A82
	v_lshrrev_b32_e32 v30, 1, v30                              // 0000000046C4: 203C3C81
	v_add_u32_e32 v13, v30, v13                                // 0000000046C8: 681A1B1E
	s_mul_i32 s60, s46, 32                                     // 0000000046CC: 923CA02E
	v_add_u32_e32 v13, s60, v13                                // 0000000046D0: 681A1A3C
	v_lshlrev_b32_e32 v13, 2, v13                              // 0000000046D4: 241A1A82
	v_and_b32_e32 v28, 15, v0                                  // 0000000046D8: 2638008F
	v_and_b32_e32 v30, 1, v28                                  // 0000000046DC: 263C3881
	v_mul_i32_i24_e32 v12, 0x108, v30                          // 0000000046E0: 0C183CFF 00000108
	v_and_b32_e32 v30, 2, v28                                  // 0000000046E8: 263C3882
	v_lshlrev_b32_e32 v30, 1, v30                              // 0000000046EC: 243C3C81
	v_add_u32_e32 v12, v30, v12                                // 0000000046F0: 6818191E
	v_and_b32_e32 v30, 4, v28                                  // 0000000046F4: 263C3884
	v_lshlrev_b32_e32 v30, 2, v30                              // 0000000046F8: 243C3C82
	v_add_u32_e32 v12, v30, v12                                // 0000000046FC: 6818191E
	v_and_b32_e32 v30, 8, v28                                  // 000000004700: 263C3888
	v_add_u32_e32 v12, v30, v12                                // 000000004704: 6818191E
	v_lshrrev_b32_e32 v28, 4, v0                               // 000000004708: 20380084
	v_and_b32_e32 v30, 1, v28                                  // 00000000470C: 263C3881
	v_lshlrev_b32_e32 v30, 5, v30                              // 000000004710: 243C3C85
	v_add_u32_e32 v12, v30, v12                                // 000000004714: 6818191E
	v_and_b32_e32 v29, 2, v28                                  // 000000004718: 263A3882
	v_mul_i32_i24_e32 v30, 32, v29                             // 00000000471C: 0C3C3AA0
	v_add_u32_e32 v12, v30, v12                                // 000000004720: 6818191E
	v_lshlrev_b32_e32 v12, 2, v12                              // 000000004724: 24181882
	v_lshrrev_b32_e32 v28, 4, v0                               // 000000004728: 20380084
	v_mul_i32_i24_e32 v21, 4, v28                              // 00000000472C: 0C2A3884
	v_and_b32_e32 v29, 3, v0                                   // 000000004730: 263A0083
	v_add_u32_e32 v21, v29, v21                                // 000000004734: 682A2B1D
	v_lshlrev_b32_e32 v21, 2, v21                              // 000000004738: 242A2A82
	v_lshrrev_b32_e32 v28, 5, v0                               // 00000000473C: 20380085
	v_mul_i32_i24_e32 v26, 0x104, v28                          // 000000004740: 0C3438FF 00000104
	v_and_b32_e32 v28, 31, v0                                  // 000000004748: 2638009F
	v_and_b32_e32 v29, 7, v28                                  // 00000000474C: 263A3887
	v_lshlrev_b32_e32 v30, 2, v29                              // 000000004750: 243C3A82
	v_add_u32_e32 v26, v30, v26                                // 000000004754: 6834351E
	v_lshrrev_b32_e32 v29, 3, v28                              // 000000004758: 203A3883
	v_and_b32_e32 v30, 1, v29                                  // 00000000475C: 263C3A81
	v_mul_i32_i24_e32 v30, 0x82, v30                           // 000000004760: 0C3C3CFF 00000082
	v_add_u32_e32 v26, v30, v26                                // 000000004768: 6834351E
	v_and_b32_e32 v30, 2, v29                                  // 00000000476C: 263C3A82
	v_lshrrev_b32_e32 v30, 1, v30                              // 000000004770: 203C3C81
	v_add_u32_e32 v26, v30, v26                                // 000000004774: 6834351E
	s_mul_i32 s60, s46, 32                                     // 000000004778: 923CA02E
	v_add_u32_e32 v26, s60, v26                                // 00000000477C: 6834343C
	v_lshlrev_b32_e32 v26, 2, v26                              // 000000004780: 24343482
	v_lshrrev_b32_e32 v28, 5, v0                               // 000000004784: 20380085
	v_mul_i32_i24_e32 v23, 0x618, v28                          // 000000004788: 0C2E38FF 00000618
	v_and_b32_e32 v28, 31, v0                                  // 000000004790: 2638009F
	v_lshlrev_b32_e32 v28, 1, v28                              // 000000004794: 24383881
	v_add_u32_e32 v23, v28, v23                                // 000000004798: 682E2F1C
	s_mul_i32 s60, s46, 0x186                                  // 00000000479C: 923CFF2E 00000186
	v_add_u32_e32 v23, s60, v23                                // 0000000047A4: 682E2E3C
	v_lshlrev_b32_e32 v23, 2, v23                              // 0000000047A8: 242E2E82
	v_lshrrev_b32_e32 v28, 4, v0                               // 0000000047AC: 20380084
	v_and_b32_e32 v29, 1, v28                                  // 0000000047B0: 263A3881
	v_mul_i32_i24_e32 v19, 0x100, v29                          // 0000000047B4: 0C263AFF 00000100
	v_and_b32_e32 v29, 2, v28                                  // 0000000047BC: 263A3882
	v_mul_i32_i24_e32 v29, 64, v29                             // 0000000047C0: 0C3A3AC0
	v_add_u32_e32 v19, v29, v19                                // 0000000047C4: 6826271D
	v_and_b32_e32 v28, 15, v0                                  // 0000000047C8: 2638008F
	v_mul_i32_i24_e32 v29, 2, v28                              // 0000000047CC: 0C3A3882
	v_add_u32_e32 v19, v29, v19                                // 0000000047D0: 6826271D
	s_mul_i32 s60, s46, 32                                     // 0000000047D4: 923CA02E
	v_add_u32_e32 v19, s60, v19                                // 0000000047D8: 6826263C
	v_lshlrev_b32_e32 v19, 2, v19                              // 0000000047DC: 24262682
	v_lshlrev_b32_e32 v20, 1, v0                               // 0000000047E0: 24280081
	s_mul_i32 s60, s46, 0x300                                  // 0000000047E4: 923CFF2E 00000300
	v_add_u32_e32 v20, s60, v20                                // 0000000047EC: 6828283C
	v_lshlrev_b32_e32 v20, 2, v20                              // 0000000047F0: 24282882
	v_lshrrev_b32_e32 v28, 5, v0                               // 0000000047F4: 20380085
	v_mul_i32_i24_e32 v17, 64, v28                             // 0000000047F8: 0C2238C0
	v_and_b32_e32 v28, 31, v0                                  // 0000000047FC: 2638009F
	v_and_b32_e32 v28, 3, v28                                  // 000000004800: 26383883
	v_and_b32_e32 v29, 1, v28                                  // 000000004804: 263A3881
	v_mul_i32_i24_e32 v29, 4, v29                              // 000000004808: 0C3A3A84
	v_add_u32_e32 v17, v29, v17                                // 00000000480C: 6822231D
	v_and_b32_e32 v29, 2, v28                                  // 000000004810: 263A3882
	v_mul_i32_i24_e32 v29, 0x44, v29                           // 000000004814: 0C3A3AFF 00000044
	v_add_u32_e32 v17, v29, v17                                // 00000000481C: 6822231D
	v_and_b32_e32 v28, 31, v0                                  // 000000004820: 2638009F
	v_lshrrev_b32_e32 v28, 2, v28                              // 000000004824: 20383882
	v_lshrrev_b32_e32 v30, 2, v28                              // 000000004828: 203C3882
	v_mul_i32_i24_e32 v29, 16, v30                             // 00000000482C: 0C3A3C90
	v_add_u32_e32 v17, v29, v17                                // 000000004830: 6822231D
	v_and_b32_e32 v29, 2, v28                                  // 000000004834: 263A3882
	v_lshlrev_b32_e32 v29, 4, v29                              // 000000004838: 243A3A84
	v_add_u32_e32 v17, v29, v17                                // 00000000483C: 6822231D
	v_and_b32_e32 v29, 1, v28                                  // 000000004840: 263A3881
	v_xor_b32_e32 v29, v30, v29                                // 000000004844: 2A3A3B1E
	v_mul_i32_i24_e32 v29, 8, v29                              // 000000004848: 0C3A3A88
	v_add_u32_e32 v17, v29, v17                                // 00000000484C: 6822231D
	v_lshlrev_b32_e32 v17, 2, v17                              // 000000004850: 24222282
	v_lshrrev_b32_e32 v28, 5, v0                               // 000000004854: 20380085
	v_mul_i32_i24_e32 v18, 32, v28                             // 000000004858: 0C2438A0
	v_and_b32_e32 v28, 31, v0                                  // 00000000485C: 2638009F
	v_and_b32_e32 v28, 3, v28                                  // 000000004860: 26383883
	v_and_b32_e32 v29, 1, v28                                  // 000000004864: 263A3881
	v_mul_i32_i24_e32 v29, 4, v29                              // 000000004868: 0C3A3A84
	v_add_u32_e32 v18, v29, v18                                // 00000000486C: 6824251D
	v_and_b32_e32 v29, 2, v28                                  // 000000004870: 263A3882
	v_lshrrev_b32_e32 v29, 1, v29                              // 000000004874: 203A3A81
	v_add_u32_e32 v18, v29, v18                                // 000000004878: 6824251D
	v_and_b32_e32 v28, 31, v0                                  // 00000000487C: 2638009F
	v_lshrrev_b32_e32 v28, 2, v28                              // 000000004880: 20383882
	v_and_b32_e32 v30, 1, v28                                  // 000000004884: 263C3881
	v_mul_i32_i24_e32 v29, 16, v30                             // 000000004888: 0C3A3C90
	v_add_u32_e32 v18, v29, v18                                // 00000000488C: 6824251D
	v_and_b32_e32 v29, 2, v28                                  // 000000004890: 263A3882
	v_add_u32_e32 v18, v29, v18                                // 000000004894: 6824251D
	v_lshrrev_b32_e32 v29, 2, v28                              // 000000004898: 203A3882
	v_xor_b32_e32 v29, v30, v29                                // 00000000489C: 2A3A3B1E
	v_mul_i32_i24_e32 v29, 8, v29                              // 0000000048A0: 0C3A3A88
	v_add_u32_e32 v18, v29, v18                                // 0000000048A4: 6824251D
	s_and_b32 s60, 1, s46                                      // 0000000048A8: 863C2E81
	s_mul_i32 s60, s60, 64                                     // 0000000048AC: 923CC03C
	s_lshr_b32 s61, s46, 1                                     // 0000000048B0: 8F3D812E
	s_mul_i32 s61, s61, 0x120                                  // 0000000048B4: 923DFF3D 00000120
	s_add_u32 s60, s60, s61                                    // 0000000048BC: 803C3D3C
	v_add_u32_e32 v18, s60, v18                                // 0000000048C0: 6824243C
	v_lshlrev_b32_e32 v18, 2, v18                              // 0000000048C4: 24242482
	buffer_load_dword v160, v1, s[12:15], 0 idxen              // 0000000048C8: E0502000 8003A001
	buffer_load_dword v161, v2, s[12:15], 0 idxen              // 0000000048D0: E0502000 8003A102
	buffer_load_dword v162, v1, s[12:15], 0 idxen offset:128   // 0000000048D8: E0502080 8003A201
	buffer_load_dword v163, v2, s[12:15], 0 idxen offset:128   // 0000000048E0: E0502080 8003A302
	v_mov_b32_e32 v164, 0                                      // 0000000048E8: 7F480280
	s_mov_b64 exec, s[80:81]                                   // 0000000048EC: BEFE0150
	buffer_load_dword v164, v1, s[12:15], 0 idxen offset:256   // 0000000048F0: E0502100 8003A401
	s_mov_b32 exec_lo, -1                                      // 0000000048F8: BEFE00C1
	s_mov_b32 exec_hi, -1                                      // 0000000048FC: BEFF00C1
	v_mov_b32_e32 v165, 0                                      // 000000004900: 7F4A0280
	s_mov_b64 exec, s[80:81]                                   // 000000004904: BEFE0150
	buffer_load_dword v165, v2, s[12:15], 0 idxen offset:256   // 000000004908: E0502100 8003A502
	s_mov_b32 exec_lo, -1                                      // 000000004910: BEFE00C1
	s_mov_b32 exec_hi, -1                                      // 000000004914: BEFF00C1
	s_mul_i32 s60, 4, s6                                       // 000000004918: 923C0684
	v_add_u32_e32 v1, s60, v1                                  // 00000000491C: 6802023C
	v_add_u32_e32 v2, s60, v2                                  // 000000004920: 6804043C
	buffer_load_dword v166, v1, s[12:15], 0 idxen              // 000000004924: E0502000 8003A601
	buffer_load_dword v167, v2, s[12:15], 0 idxen              // 00000000492C: E0502000 8003A702
	buffer_load_dword v168, v1, s[12:15], 0 idxen offset:128   // 000000004934: E0502080 8003A801
	buffer_load_dword v169, v2, s[12:15], 0 idxen offset:128   // 00000000493C: E0502080 8003A902
	v_mov_b32_e32 v170, 0                                      // 000000004944: 7F540280
	s_mov_b64 exec, s[80:81]                                   // 000000004948: BEFE0150
	buffer_load_dword v170, v1, s[12:15], 0 idxen offset:256   // 00000000494C: E0502100 8003AA01
	s_mov_b32 exec_lo, -1                                      // 000000004954: BEFE00C1
	s_mov_b32 exec_hi, -1                                      // 000000004958: BEFF00C1
	v_mov_b32_e32 v171, 0                                      // 00000000495C: 7F560280
	s_mov_b64 exec, s[80:81]                                   // 000000004960: BEFE0150
	buffer_load_dword v171, v2, s[12:15], 0 idxen offset:256   // 000000004964: E0502100 8003AB02
	s_mov_b32 exec_lo, -1                                      // 00000000496C: BEFE00C1
	s_mov_b32 exec_hi, -1                                      // 000000004970: BEFF00C1
	s_mul_i32 s60, 4, s6                                       // 000000004974: 923C0684
	v_add_u32_e32 v1, s60, v1                                  // 000000004978: 6802023C
	v_add_u32_e32 v2, s60, v2                                  // 00000000497C: 6804043C
	buffer_load_dword v172, v1, s[12:15], 0 idxen              // 000000004980: E0502000 8003AC01
	buffer_load_dword v173, v2, s[12:15], 0 idxen              // 000000004988: E0502000 8003AD02
	buffer_load_dword v174, v1, s[12:15], 0 idxen offset:128   // 000000004990: E0502080 8003AE01
	buffer_load_dword v175, v2, s[12:15], 0 idxen offset:128   // 000000004998: E0502080 8003AF02
	v_mov_b32_e32 v176, 0                                      // 0000000049A0: 7F600280
	s_mov_b64 exec, s[80:81]                                   // 0000000049A4: BEFE0150
	buffer_load_dword v176, v1, s[12:15], 0 idxen offset:256   // 0000000049A8: E0502100 8003B001
	s_mov_b32 exec_lo, -1                                      // 0000000049B0: BEFE00C1
	s_mov_b32 exec_hi, -1                                      // 0000000049B4: BEFF00C1
	v_mov_b32_e32 v177, 0                                      // 0000000049B8: 7F620280
	s_mov_b64 exec, s[80:81]                                   // 0000000049BC: BEFE0150
	buffer_load_dword v177, v2, s[12:15], 0 idxen offset:256   // 0000000049C0: E0502100 8003B102
	s_mov_b32 exec_lo, -1                                      // 0000000049C8: BEFE00C1
	s_mov_b32 exec_hi, -1                                      // 0000000049CC: BEFF00C1
	s_mul_i32 s60, 4, s6                                       // 0000000049D0: 923C0684
	v_add_u32_e32 v1, s60, v1                                  // 0000000049D4: 6802023C
	v_add_u32_e32 v2, s60, v2                                  // 0000000049D8: 6804043C
	buffer_load_dword v178, v1, s[12:15], 0 idxen              // 0000000049DC: E0502000 8003B201
	buffer_load_dword v179, v2, s[12:15], 0 idxen              // 0000000049E4: E0502000 8003B302
	buffer_load_dword v180, v1, s[12:15], 0 idxen offset:128   // 0000000049EC: E0502080 8003B401
	buffer_load_dword v181, v2, s[12:15], 0 idxen offset:128   // 0000000049F4: E0502080 8003B502
	v_mov_b32_e32 v182, 0                                      // 0000000049FC: 7F6C0280
	s_mov_b64 exec, s[80:81]                                   // 000000004A00: BEFE0150
	buffer_load_dword v182, v1, s[12:15], 0 idxen offset:256   // 000000004A04: E0502100 8003B601
	s_mov_b32 exec_lo, -1                                      // 000000004A0C: BEFE00C1
	s_mov_b32 exec_hi, -1                                      // 000000004A10: BEFF00C1
	v_mov_b32_e32 v183, 0                                      // 000000004A14: 7F6E0280
	s_mov_b64 exec, s[80:81]                                   // 000000004A18: BEFE0150
	buffer_load_dword v183, v2, s[12:15], 0 idxen offset:256   // 000000004A1C: E0502100 8003B702
	s_mov_b32 exec_lo, -1                                      // 000000004A24: BEFE00C1
	s_mov_b32 exec_hi, -1                                      // 000000004A28: BEFF00C1
	s_mul_i32 s60, 4, s6                                       // 000000004A2C: 923C0684
	v_add_u32_e32 v1, s60, v1                                  // 000000004A30: 6802023C
	v_add_u32_e32 v2, s60, v2                                  // 000000004A34: 6804043C
	s_waitcnt vmcnt(0) lgkmcnt(0)                              // 000000004A38: BF8C0070
	s_barrier                                                  // 000000004A3C: BF8A0000
	v_perm_b32 v184, v161, v160, s63                           // 000000004A40: D1ED00B8 00FF41A1
	v_perm_b32 v185, v161, v160, s64                           // 000000004A48: D1ED00B9 010341A1
	v_perm_b32 v186, v163, v162, s63                           // 000000004A50: D1ED00BA 00FF45A3
	v_perm_b32 v187, v163, v162, s64                           // 000000004A58: D1ED00BB 010345A3
	v_perm_b32 v188, v165, v164, s63                           // 000000004A60: D1ED00BC 00FF49A5
	v_perm_b32 v189, v165, v164, s64                           // 000000004A68: D1ED00BD 010349A5
	v_perm_b32 v190, v167, v166, s63                           // 000000004A70: D1ED00BE 00FF4DA7
	v_perm_b32 v191, v167, v166, s64                           // 000000004A78: D1ED00BF 01034DA7
	v_perm_b32 v192, v169, v168, s63                           // 000000004A80: D1ED00C0 00FF51A9
	v_perm_b32 v193, v169, v168, s64                           // 000000004A88: D1ED00C1 010351A9
	v_perm_b32 v194, v171, v170, s63                           // 000000004A90: D1ED00C2 00FF55AB
	v_perm_b32 v195, v171, v170, s64                           // 000000004A98: D1ED00C3 010355AB
	v_perm_b32 v196, v173, v172, s63                           // 000000004AA0: D1ED00C4 00FF59AD
	v_perm_b32 v197, v173, v172, s64                           // 000000004AA8: D1ED00C5 010359AD
	v_perm_b32 v198, v175, v174, s63                           // 000000004AB0: D1ED00C6 00FF5DAF
	v_perm_b32 v199, v175, v174, s64                           // 000000004AB8: D1ED00C7 01035DAF
	v_perm_b32 v200, v177, v176, s63                           // 000000004AC0: D1ED00C8 00FF61B1
	v_perm_b32 v201, v177, v176, s64                           // 000000004AC8: D1ED00C9 010361B1
	v_perm_b32 v202, v179, v178, s63                           // 000000004AD0: D1ED00CA 00FF65B3
	v_perm_b32 v203, v179, v178, s64                           // 000000004AD8: D1ED00CB 010365B3
	v_perm_b32 v204, v181, v180, s63                           // 000000004AE0: D1ED00CC 00FF69B5
	v_perm_b32 v205, v181, v180, s64                           // 000000004AE8: D1ED00CD 010369B5
	v_perm_b32 v206, v183, v182, s63                           // 000000004AF0: D1ED00CE 00FF6DB7
	v_perm_b32 v207, v183, v182, s64                           // 000000004AF8: D1ED00CF 01036DB7
	ds_write_b32 v26, v184 offset:26112                        // 000000004B00: D81A6600 0000B81A
	ds_write_b32 v26, v185 offset:26120                        // 000000004B08: D81A6608 0000B91A
	ds_write_b32 v26, v186 offset:28192                        // 000000004B10: D81A6E20 0000BA1A
	ds_write_b32 v26, v187 offset:28200                        // 000000004B18: D81A6E28 0000BB1A
	ds_write_b32 v26, v188 offset:30272                        // 000000004B20: D81A7640 0000BC1A
	ds_write_b32 v26, v189 offset:30280                        // 000000004B28: D81A7648 0000BD1A
	ds_write_b32 v26, v190 offset:32352                        // 000000004B30: D81A7E60 0000BE1A
	ds_write_b32 v26, v191 offset:32360                        // 000000004B38: D81A7E68 0000BF1A
	ds_write_b32 v26, v192 offset:34432                        // 000000004B40: D81A8680 0000C01A
	ds_write_b32 v26, v193 offset:34440                        // 000000004B48: D81A8688 0000C11A
	ds_write_b32 v26, v194 offset:36512                        // 000000004B50: D81A8EA0 0000C21A
	ds_write_b32 v26, v195 offset:36520                        // 000000004B58: D81A8EA8 0000C31A
	ds_write_b32 v26, v196 offset:38592                        // 000000004B60: D81A96C0 0000C41A
	ds_write_b32 v26, v197 offset:38600                        // 000000004B68: D81A96C8 0000C51A
	ds_write_b32 v26, v198 offset:40672                        // 000000004B70: D81A9EE0 0000C61A
	ds_write_b32 v26, v199 offset:40680                        // 000000004B78: D81A9EE8 0000C71A
	ds_write_b32 v26, v200 offset:42752                        // 000000004B80: D81AA700 0000C81A
	ds_write_b32 v26, v201 offset:42760                        // 000000004B88: D81AA708 0000C91A
	ds_write_b32 v26, v202 offset:44832                        // 000000004B90: D81AAF20 0000CA1A
	ds_write_b32 v26, v203 offset:44840                        // 000000004B98: D81AAF28 0000CB1A
	ds_write_b32 v26, v204 offset:46912                        // 000000004BA0: D81AB740 0000CC1A
	ds_write_b32 v26, v205 offset:46920                        // 000000004BA8: D81AB748 0000CD1A
	ds_write_b32 v26, v206 offset:48992                        // 000000004BB0: D81ABF60 0000CE1A
	ds_write_b32 v26, v207 offset:49000                        // 000000004BB8: D81ABF68 0000CF1A
	ds_write_b32 v11, v160                                     // 000000004BC0: D81A0000 0000A00B
	ds_write_b32 v11, v161 offset:1056                         // 000000004BC8: D81A0420 0000A10B
	ds_write_b32 v11, v162 offset:2176                         // 000000004BD0: D81A0880 0000A20B
	ds_write_b32 v11, v163 offset:3232                         // 000000004BD8: D81A0CA0 0000A30B
	ds_write_b32 v11, v164 offset:4352                         // 000000004BE0: D81A1100 0000A40B
	ds_write_b32 v11, v165 offset:5408                         // 000000004BE8: D81A1520 0000A50B
	ds_write_b32 v11, v166 offset:6528                         // 000000004BF0: D81A1980 0000A60B
	ds_write_b32 v11, v167 offset:7584                         // 000000004BF8: D81A1DA0 0000A70B
	ds_write_b32 v11, v168 offset:8704                         // 000000004C00: D81A2200 0000A80B
	ds_write_b32 v11, v169 offset:9760                         // 000000004C08: D81A2620 0000A90B
	ds_write_b32 v11, v170 offset:10880                        // 000000004C10: D81A2A80 0000AA0B
	ds_write_b32 v11, v171 offset:11936                        // 000000004C18: D81A2EA0 0000AB0B
	ds_write_b32 v11, v172 offset:13056                        // 000000004C20: D81A3300 0000AC0B
	ds_write_b32 v11, v173 offset:14112                        // 000000004C28: D81A3720 0000AD0B
	ds_write_b32 v11, v174 offset:15232                        // 000000004C30: D81A3B80 0000AE0B
	ds_write_b32 v11, v175 offset:16288                        // 000000004C38: D81A3FA0 0000AF0B
	ds_write_b32 v11, v176 offset:17408                        // 000000004C40: D81A4400 0000B00B
	ds_write_b32 v11, v177 offset:18464                        // 000000004C48: D81A4820 0000B10B
	ds_write_b32 v11, v178 offset:19584                        // 000000004C50: D81A4C80 0000B20B
	ds_write_b32 v11, v179 offset:20640                        // 000000004C58: D81A50A0 0000B30B
	ds_write_b32 v11, v180 offset:21760                        // 000000004C60: D81A5500 0000B40B
	ds_write_b32 v11, v181 offset:22816                        // 000000004C68: D81A5920 0000B50B
	ds_write_b32 v11, v182 offset:23936                        // 000000004C70: D81A5D80 0000B60B
	ds_write_b32 v11, v183 offset:24992                        // 000000004C78: D81A61A0 0000B70B
	s_waitcnt lgkmcnt(0)                                       // 000000004C80: BF8CC07F
	s_barrier                                                  // 000000004C84: BF8A0000
	buffer_load_dword v160, v208, s[16:19], 0 idxen            // 000000004C88: E0502000 8004A0D0
	buffer_load_dword v161, v209, s[16:19], 0 idxen            // 000000004C90: E0502000 8004A1D1
	buffer_load_dword v162, v208, s[16:19], 0 idxen offset:128 // 000000004C98: E0502080 8004A2D0
	buffer_load_dword v163, v209, s[16:19], 0 idxen offset:128 // 000000004CA0: E0502080 8004A3D1
	v_mov_b32_e32 v164, 0                                      // 000000004CA8: 7F480280
	s_mov_b64 exec, s[80:81]                                   // 000000004CAC: BEFE0150
	buffer_load_dword v164, v208, s[16:19], 0 idxen offset:256 // 000000004CB0: E0502100 8004A4D0
	s_mov_b32 exec_lo, -1                                      // 000000004CB8: BEFE00C1
	s_mov_b32 exec_hi, -1                                      // 000000004CBC: BEFF00C1
	v_mov_b32_e32 v165, 0                                      // 000000004CC0: 7F4A0280
	s_mov_b64 exec, s[80:81]                                   // 000000004CC4: BEFE0150
	buffer_load_dword v165, v209, s[16:19], 0 idxen offset:256 // 000000004CC8: E0502100 8004A5D1
	s_mov_b32 exec_lo, -1                                      // 000000004CD0: BEFE00C1
	s_mov_b32 exec_hi, -1                                      // 000000004CD4: BEFF00C1
	s_mul_i32 s60, 4, s7                                       // 000000004CD8: 923C0784
	v_add_u32_e32 v208, s60, v208                              // 000000004CDC: 69A1A03C
	v_add_u32_e32 v209, s60, v209                              // 000000004CE0: 69A3A23C
	buffer_load_dword v166, v208, s[16:19], 0 idxen            // 000000004CE4: E0502000 8004A6D0
	buffer_load_dword v167, v209, s[16:19], 0 idxen            // 000000004CEC: E0502000 8004A7D1
	buffer_load_dword v168, v208, s[16:19], 0 idxen offset:128 // 000000004CF4: E0502080 8004A8D0
	buffer_load_dword v169, v209, s[16:19], 0 idxen offset:128 // 000000004CFC: E0502080 8004A9D1
	v_mov_b32_e32 v170, 0                                      // 000000004D04: 7F540280
	s_mov_b64 exec, s[80:81]                                   // 000000004D08: BEFE0150
	buffer_load_dword v170, v208, s[16:19], 0 idxen offset:256 // 000000004D0C: E0502100 8004AAD0
	s_mov_b32 exec_lo, -1                                      // 000000004D14: BEFE00C1
	s_mov_b32 exec_hi, -1                                      // 000000004D18: BEFF00C1
	v_mov_b32_e32 v171, 0                                      // 000000004D1C: 7F560280
	s_mov_b64 exec, s[80:81]                                   // 000000004D20: BEFE0150
	buffer_load_dword v171, v209, s[16:19], 0 idxen offset:256 // 000000004D24: E0502100 8004ABD1
	s_mov_b32 exec_lo, -1                                      // 000000004D2C: BEFE00C1
	s_mov_b32 exec_hi, -1                                      // 000000004D30: BEFF00C1
	s_mul_i32 s60, 4, s7                                       // 000000004D34: 923C0784
	v_add_u32_e32 v208, s60, v208                              // 000000004D38: 69A1A03C
	v_add_u32_e32 v209, s60, v209                              // 000000004D3C: 69A3A23C
	buffer_load_dword v172, v208, s[16:19], 0 idxen            // 000000004D40: E0502000 8004ACD0
	buffer_load_dword v173, v209, s[16:19], 0 idxen            // 000000004D48: E0502000 8004ADD1
	buffer_load_dword v174, v208, s[16:19], 0 idxen offset:128 // 000000004D50: E0502080 8004AED0
	buffer_load_dword v175, v209, s[16:19], 0 idxen offset:128 // 000000004D58: E0502080 8004AFD1
	v_mov_b32_e32 v176, 0                                      // 000000004D60: 7F600280
	s_mov_b64 exec, s[80:81]                                   // 000000004D64: BEFE0150
	buffer_load_dword v176, v208, s[16:19], 0 idxen offset:256 // 000000004D68: E0502100 8004B0D0
	s_mov_b32 exec_lo, -1                                      // 000000004D70: BEFE00C1
	s_mov_b32 exec_hi, -1                                      // 000000004D74: BEFF00C1
	v_mov_b32_e32 v177, 0                                      // 000000004D78: 7F620280
	s_mov_b64 exec, s[80:81]                                   // 000000004D7C: BEFE0150
	buffer_load_dword v177, v209, s[16:19], 0 idxen offset:256 // 000000004D80: E0502100 8004B1D1
	s_mov_b32 exec_lo, -1                                      // 000000004D88: BEFE00C1
	s_mov_b32 exec_hi, -1                                      // 000000004D8C: BEFF00C1
	s_mul_i32 s60, 4, s7                                       // 000000004D90: 923C0784
	v_add_u32_e32 v208, s60, v208                              // 000000004D94: 69A1A03C
	v_add_u32_e32 v209, s60, v209                              // 000000004D98: 69A3A23C
	buffer_load_dword v178, v208, s[16:19], 0 idxen            // 000000004D9C: E0502000 8004B2D0
	buffer_load_dword v179, v209, s[16:19], 0 idxen            // 000000004DA4: E0502000 8004B3D1
	buffer_load_dword v180, v208, s[16:19], 0 idxen offset:128 // 000000004DAC: E0502080 8004B4D0
	buffer_load_dword v181, v209, s[16:19], 0 idxen offset:128 // 000000004DB4: E0502080 8004B5D1
	v_mov_b32_e32 v182, 0                                      // 000000004DBC: 7F6C0280
	s_mov_b64 exec, s[80:81]                                   // 000000004DC0: BEFE0150
	buffer_load_dword v182, v208, s[16:19], 0 idxen offset:256 // 000000004DC4: E0502100 8004B6D0
	s_mov_b32 exec_lo, -1                                      // 000000004DCC: BEFE00C1
	s_mov_b32 exec_hi, -1                                      // 000000004DD0: BEFF00C1
	v_mov_b32_e32 v183, 0                                      // 000000004DD4: 7F6E0280
	s_mov_b64 exec, s[80:81]                                   // 000000004DD8: BEFE0150
	buffer_load_dword v183, v209, s[16:19], 0 idxen offset:256 // 000000004DDC: E0502100 8004B7D1
	s_mov_b32 exec_lo, -1                                      // 000000004DE4: BEFE00C1
	s_mov_b32 exec_hi, -1                                      // 000000004DE8: BEFF00C1
	s_mul_i32 s60, 4, s7                                       // 000000004DEC: 923C0784
	v_add_u32_e32 v208, s60, v208                              // 000000004DF0: 69A1A03C
	v_add_u32_e32 v209, s60, v209                              // 000000004DF4: 69A3A23C
	ds_read_b64 a[24:25], v23 offset:26112                     // 000000004DF8: DAEC6600 18000017
	ds_read_b64 a[26:27], v23 offset:26632                     // 000000004E00: DAEC6808 1A000017
	ds_read_b64 a[28:29], v23 offset:27152                     // 000000004E08: DAEC6A10 1C000017
	ds_read_b64 a[30:31], v23 offset:26368                     // 000000004E10: DAEC6700 1E000017
	ds_read_b64 a[32:33], v23 offset:26888                     // 000000004E18: DAEC6908 20000017
	ds_read_b64 a[34:35], v23 offset:27408                     // 000000004E20: DAEC6B10 22000017
	ds_read_b64 a[36:37], v23 offset:38592                     // 000000004E28: DAEC96C0 24000017
	ds_read_b64 a[38:39], v23 offset:39112                     // 000000004E30: DAEC98C8 26000017
	ds_read_b64 a[40:41], v23 offset:39632                     // 000000004E38: DAEC9AD0 28000017
	ds_read_b64 a[42:43], v23 offset:38848                     // 000000004E40: DAEC97C0 2A000017
	ds_read_b64 a[44:45], v23 offset:39368                     // 000000004E48: DAEC99C8 2C000017
	ds_read_b64 a[46:47], v23 offset:39888                     // 000000004E50: DAEC9BD0 2E000017
	ds_read_b128 a[0:3], v22                                   // 000000004E58: DBFE0000 00000016
	ds_read_b128 a[4:7], v22 offset:512                        // 000000004E60: DBFE0200 04000016
	ds_read_b128 a[8:11], v22 offset:2176                      // 000000004E68: DBFE0880 08000016
	ds_read_b128 a[12:15], v22 offset:2688                     // 000000004E70: DBFE0A80 0C000016
	ds_read_b128 a[16:19], v22 offset:4352                     // 000000004E78: DBFE1100 10000016
	ds_read_b128 a[20:23], v22 offset:4864                     // 000000004E80: DBFE1300 14000016
	s_waitcnt vmcnt(0) lgkmcnt(0)                              // 000000004E88: BF8C0070
	s_barrier                                                  // 000000004E8C: BF8A0000
	ds_write_b32 v11, v160                                     // 000000004E90: D81A0000 0000A00B
	ds_write_b32 v11, v161 offset:1056                         // 000000004E98: D81A0420 0000A10B
	ds_write_b32 v11, v162 offset:2176                         // 000000004EA0: D81A0880 0000A20B
	ds_write_b32 v11, v163 offset:3232                         // 000000004EA8: D81A0CA0 0000A30B
	ds_write_b32 v11, v164 offset:4352                         // 000000004EB0: D81A1100 0000A40B
	ds_write_b32 v11, v165 offset:5408                         // 000000004EB8: D81A1520 0000A50B
	ds_write_b32 v11, v166 offset:6528                         // 000000004EC0: D81A1980 0000A60B
	ds_write_b32 v11, v167 offset:7584                         // 000000004EC8: D81A1DA0 0000A70B
	ds_write_b32 v11, v168 offset:8704                         // 000000004ED0: D81A2200 0000A80B
	ds_write_b32 v11, v169 offset:9760                         // 000000004ED8: D81A2620 0000A90B
	ds_write_b32 v11, v170 offset:10880                        // 000000004EE0: D81A2A80 0000AA0B
	ds_write_b32 v11, v171 offset:11936                        // 000000004EE8: D81A2EA0 0000AB0B
	ds_write_b32 v11, v172 offset:13056                        // 000000004EF0: D81A3300 0000AC0B
	ds_write_b32 v11, v173 offset:14112                        // 000000004EF8: D81A3720 0000AD0B
	ds_write_b32 v11, v174 offset:15232                        // 000000004F00: D81A3B80 0000AE0B
	ds_write_b32 v11, v175 offset:16288                        // 000000004F08: D81A3FA0 0000AF0B
	ds_write_b32 v11, v176 offset:17408                        // 000000004F10: D81A4400 0000B00B
	ds_write_b32 v11, v177 offset:18464                        // 000000004F18: D81A4820 0000B10B
	ds_write_b32 v11, v178 offset:19584                        // 000000004F20: D81A4C80 0000B20B
	ds_write_b32 v11, v179 offset:20640                        // 000000004F28: D81A50A0 0000B30B
	ds_write_b32 v11, v180 offset:21760                        // 000000004F30: D81A5500 0000B40B
	ds_write_b32 v11, v181 offset:22816                        // 000000004F38: D81A5920 0000B50B
	ds_write_b32 v11, v182 offset:23936                        // 000000004F40: D81A5D80 0000B60B
	ds_write_b32 v11, v183 offset:24992                        // 000000004F48: D81A61A0 0000B70B
	s_mov_b32 s71, s5                                          // 000000004F50: BEC70005
	v_lshrrev_b32_e32 v28, 4, v0                               // 000000004F54: 20380084
	v_and_b32_e32 v29, 1, v28                                  // 000000004F58: 263A3881
	v_lshlrev_b32_e32 v29, 1, v29                              // 000000004F5C: 243A3A81
	v_mul_i32_i24_e32 v29, s71, v29                            // 000000004F60: 0C3A3A47
	v_and_b32_e32 v30, 2, v28                                  // 000000004F64: 263C3882
	v_lshlrev_b32_e32 v30, 5, v30                              // 000000004F68: 243C3C85
	v_add_u32_e32 v29, v30, v29                                // 000000004F6C: 683A3B1E
	v_and_b32_e32 v28, 15, v0                                  // 000000004F70: 2638008F
	v_lshlrev_b32_e32 v28, 2, v28                              // 000000004F74: 24383882
	v_add_u32_e32 v1, v28, v29                                 // 000000004F78: 68023B1C
	s_mul_i32 s60, s46, s71                                    // 000000004F7C: 923C472E
	s_mul_i32 s60, s60, 4                                      // 000000004F80: 923C843C
	v_add_u32_e32 v1, s60, v1                                  // 000000004F84: 6802023C
	v_add_u32_e32 v2, s71, v1                                  // 000000004F88: 68040247
	s_mov_b32 s71, s51                                         // 000000004F8C: BEC70033
	v_lshrrev_b32_e32 v28, 4, v0                               // 000000004F90: 20380084
	v_and_b32_e32 v29, 1, v28                                  // 000000004F94: 263A3881
	v_lshlrev_b32_e32 v29, 1, v29                              // 000000004F98: 243A3A81
	v_mul_i32_i24_e32 v29, s71, v29                            // 000000004F9C: 0C3A3A47
	v_and_b32_e32 v30, 2, v28                                  // 000000004FA0: 263C3882
	v_lshlrev_b32_e32 v30, 5, v30                              // 000000004FA4: 243C3C85
	v_add_u32_e32 v29, v30, v29                                // 000000004FA8: 683A3B1E
	v_and_b32_e32 v28, 15, v0                                  // 000000004FAC: 2638008F
	v_lshlrev_b32_e32 v28, 2, v28                              // 000000004FB0: 24383882
	v_add_u32_e32 v208, v28, v29                               // 000000004FB4: 69A03B1C
	s_mul_i32 s60, s46, s71                                    // 000000004FB8: 923C472E
	s_mul_i32 s60, s60, 4                                      // 000000004FBC: 923C843C
	v_add_u32_e32 v208, s60, v208                              // 000000004FC0: 69A1A03C
	v_add_u32_e32 v209, s71, v208                              // 000000004FC4: 69A3A047
	v_lshrrev_b32_e32 v1, 2, v1                                // 000000004FC8: 20020282
	v_lshrrev_b32_e32 v2, 2, v2                                // 000000004FCC: 20040482
	v_lshrrev_b32_e32 v208, 2, v208                            // 000000004FD0: 21A1A082
	v_lshrrev_b32_e32 v209, 2, v209                            // 000000004FD4: 21A3A282
	buffer_load_dword v32, v1, s[8:11], 0 idxen                // 000000004FD8: E0502000 80022001
	buffer_load_dword v33, v2, s[8:11], 0 idxen                // 000000004FE0: E0502000 80022102
	buffer_load_dword v34, v1, s[8:11], 0 idxen offset:128     // 000000004FE8: E0502080 80022201
	buffer_load_dword v35, v2, s[8:11], 0 idxen offset:128     // 000000004FF0: E0502080 80022302
	v_mov_b32_e32 v36, 0                                       // 000000004FF8: 7E480280
	s_mov_b64 exec, s[80:81]                                   // 000000004FFC: BEFE0150
	buffer_load_dword v36, v1, s[8:11], 0 idxen offset:256     // 000000005000: E0502100 80022401
	s_mov_b32 exec_lo, -1                                      // 000000005008: BEFE00C1
	s_mov_b32 exec_hi, -1                                      // 00000000500C: BEFF00C1
	v_mov_b32_e32 v37, 0                                       // 000000005010: 7E4A0280
	s_mov_b64 exec, s[80:81]                                   // 000000005014: BEFE0150
	buffer_load_dword v37, v2, s[8:11], 0 idxen offset:256     // 000000005018: E0502100 80022502
	s_mov_b32 exec_lo, -1                                      // 000000005020: BEFE00C1
	s_mov_b32 exec_hi, -1                                      // 000000005024: BEFF00C1
	buffer_load_dword v44, v208, s[20:23], 0 idxen             // 000000005028: E0502000 80052CD0
	buffer_load_dword v45, v209, s[20:23], 0 idxen             // 000000005030: E0502000 80052DD1
	buffer_load_dword v46, v208, s[20:23], 0 idxen offset:128  // 000000005038: E0502080 80052ED0
	buffer_load_dword v47, v209, s[20:23], 0 idxen offset:128  // 000000005040: E0502080 80052FD1
	v_mov_b32_e32 v48, 0                                       // 000000005048: 7E600280
	s_mov_b64 exec, s[80:81]                                   // 00000000504C: BEFE0150
	buffer_load_dword v48, v208, s[20:23], 0 idxen offset:256  // 000000005050: E0502100 800530D0
	s_mov_b32 exec_lo, -1                                      // 000000005058: BEFE00C1
	s_mov_b32 exec_hi, -1                                      // 00000000505C: BEFF00C1
	v_mov_b32_e32 v49, 0                                       // 000000005060: 7E620280
	s_mov_b64 exec, s[80:81]                                   // 000000005064: BEFE0150
	buffer_load_dword v49, v209, s[20:23], 0 idxen offset:256  // 000000005068: E0502100 800531D1
	s_mov_b32 exec_lo, -1                                      // 000000005070: BEFE00C1
	s_mov_b32 exec_hi, -1                                      // 000000005074: BEFF00C1
	s_waitcnt lgkmcnt(0)                                       // 000000005078: BF8CC07F
	s_barrier                                                  // 00000000507C: BF8A0000
	ds_read_b128 a[48:51], v22                                 // 000000005080: DBFE0000 30000016
	ds_read_b128 a[52:55], v22 offset:512                      // 000000005088: DBFE0200 34000016
	ds_read_b128 a[56:59], v22 offset:2176                     // 000000005090: DBFE0880 38000016
	ds_read_b128 a[60:63], v22 offset:2688                     // 000000005098: DBFE0A80 3C000016
	ds_read_b128 a[64:67], v22 offset:4352                     // 0000000050A0: DBFE1100 40000016
	ds_read_b128 a[68:71], v22 offset:4864                     // 0000000050A8: DBFE1300 44000016
	v_add_u32_e32 v1, s68, v1                                  // 0000000050B0: 68020244
	v_add_u32_e32 v2, s68, v2                                  // 0000000050B4: 68040444
	v_add_u32_e32 v208, s100, v208                             // 0000000050B8: 69A1A064
	v_add_u32_e32 v209, s100, v209                             // 0000000050BC: 69A3A264
	buffer_load_dword v38, v1, s[8:11], 0 idxen                // 0000000050C0: E0502000 80022601
	buffer_load_dword v39, v2, s[8:11], 0 idxen                // 0000000050C8: E0502000 80022702
	buffer_load_dword v40, v1, s[8:11], 0 idxen offset:128     // 0000000050D0: E0502080 80022801
	buffer_load_dword v41, v2, s[8:11], 0 idxen offset:128     // 0000000050D8: E0502080 80022902
	v_mov_b32_e32 v42, 0                                       // 0000000050E0: 7E540280
	s_mov_b64 exec, s[80:81]                                   // 0000000050E4: BEFE0150
	buffer_load_dword v42, v1, s[8:11], 0 idxen offset:256     // 0000000050E8: E0502100 80022A01
	s_mov_b32 exec_lo, -1                                      // 0000000050F0: BEFE00C1
	s_mov_b32 exec_hi, -1                                      // 0000000050F4: BEFF00C1
	v_mov_b32_e32 v43, 0                                       // 0000000050F8: 7E560280
	s_mov_b64 exec, s[80:81]                                   // 0000000050FC: BEFE0150
	buffer_load_dword v43, v2, s[8:11], 0 idxen offset:256     // 000000005100: E0502100 80022B02
	s_mov_b32 exec_lo, -1                                      // 000000005108: BEFE00C1
	s_mov_b32 exec_hi, -1                                      // 00000000510C: BEFF00C1
	buffer_load_dword v50, v208, s[20:23], 0 idxen             // 000000005110: E0502000 800532D0
	buffer_load_dword v51, v209, s[20:23], 0 idxen             // 000000005118: E0502000 800533D1
	buffer_load_dword v52, v208, s[20:23], 0 idxen offset:128  // 000000005120: E0502080 800534D0
	buffer_load_dword v53, v209, s[20:23], 0 idxen offset:128  // 000000005128: E0502080 800535D1
	v_mov_b32_e32 v54, 0                                       // 000000005130: 7E6C0280
	s_mov_b64 exec, s[80:81]                                   // 000000005134: BEFE0150
	buffer_load_dword v54, v208, s[20:23], 0 idxen offset:256  // 000000005138: E0502100 800536D0
	s_mov_b32 exec_lo, -1                                      // 000000005140: BEFE00C1
	s_mov_b32 exec_hi, -1                                      // 000000005144: BEFF00C1
	v_mov_b32_e32 v55, 0                                       // 000000005148: 7E6E0280
	s_mov_b64 exec, s[80:81]                                   // 00000000514C: BEFE0150
	buffer_load_dword v55, v209, s[20:23], 0 idxen offset:256  // 000000005150: E0502100 800537D1
	s_mov_b32 exec_lo, -1                                      // 000000005158: BEFE00C1
	s_mov_b32 exec_hi, -1                                      // 00000000515C: BEFF00C1
	v_add_u32_e32 v1, s68, v1                                  // 000000005160: 68020244
	v_add_u32_e32 v2, s68, v2                                  // 000000005164: 68040444
	v_add_u32_e32 v208, s100, v208                             // 000000005168: 69A1A064
	v_add_u32_e32 v209, s100, v209                             // 00000000516C: 69A3A264
	s_waitcnt vmcnt(12) lgkmcnt(0)                             // 000000005170: BF8C007C
	s_barrier                                                  // 000000005174: BF8A0000
	buffer_load_dword v9, s[24:27], 0 idxen lds                // 000000005178: E0512000 80060009
	s_mov_b32 m0, s79                                          // 000000005180: BEFC004F
	v_add_u32_e32 v9, s69, v9                                  // 000000005184: 68121245
	v_perm_b32 v68, v33, v32, s63                              // 000000005188: D1ED0044 00FE4121
	v_perm_b32 v69, v33, v32, s64                              // 000000005190: D1ED0045 01024121
	v_perm_b32 v70, v35, v34, s63                              // 000000005198: D1ED0046 00FE4523
	v_perm_b32 v71, v35, v34, s64                              // 0000000051A0: D1ED0047 01024523
	v_perm_b32 v72, v37, v36, s63                              // 0000000051A8: D1ED0048 00FE4925
	v_perm_b32 v73, v37, v36, s64                              // 0000000051B0: D1ED0049 01024925
	ds_write_b32 v13, v68 offset:6528                          // 0000000051B8: D81A1980 0000440D
	ds_write_b32 v13, v69 offset:7584                          // 0000000051C0: D81A1DA0 0000450D
	ds_write_b32 v13, v70 offset:8704                          // 0000000051C8: D81A2200 0000460D
	ds_write_b32 v13, v71 offset:9760                          // 0000000051D0: D81A2620 0000470D
	ds_write_b32 v13, v72 offset:10880                         // 0000000051D8: D81A2A80 0000480D
	ds_write_b32 v13, v73 offset:11936                         // 0000000051E0: D81A2EA0 0000490D
	ds_write_b32 v11, v32                                      // 0000000051E8: D81A0000 0000200B
	ds_write_b32 v11, v33 offset:1056                          // 0000000051F0: D81A0420 0000210B
	ds_write_b32 v11, v34 offset:2176                          // 0000000051F8: D81A0880 0000220B
	ds_write_b32 v11, v35 offset:3232                          // 000000005200: D81A0CA0 0000230B
	ds_write_b32 v11, v36 offset:4352                          // 000000005208: D81A1100 0000240B
	ds_write_b32 v11, v37 offset:5408                          // 000000005210: D81A1520 0000250B
	buffer_load_dword v9, s[24:27], 0 idxen lds                // 000000005218: E0512000 80060009
	s_mov_b32 m0, s78                                          // 000000005220: BEFC004E
	v_add_u32_e32 v9, s69, v9                                  // 000000005224: 68121245
	v_perm_b32 v74, v45, v44, s63                              // 000000005228: D1ED004A 00FE592D
	v_perm_b32 v75, v45, v44, s64                              // 000000005230: D1ED004B 0102592D
	v_perm_b32 v76, v47, v46, s63                              // 000000005238: D1ED004C 00FE5D2F
	v_perm_b32 v77, v47, v46, s64                              // 000000005240: D1ED004D 01025D2F
	v_perm_b32 v78, v49, v48, s63                              // 000000005248: D1ED004E 00FE6131
	v_perm_b32 v79, v49, v48, s64                              // 000000005250: D1ED004F 01026131
	ds_write_b32 v13, v74 offset:19584                         // 000000005258: D81A4C80 00004A0D
	ds_write_b32 v13, v75 offset:20640                         // 000000005260: D81A50A0 00004B0D
	ds_write_b32 v13, v76 offset:21760                         // 000000005268: D81A5500 00004C0D
	ds_write_b32 v13, v77 offset:22816                         // 000000005270: D81A5920 00004D0D
	ds_write_b32 v13, v78 offset:23936                         // 000000005278: D81A5D80 00004E0D
	ds_write_b32 v13, v79 offset:24992                         // 000000005280: D81A61A0 00004F0D
	ds_write_b32 v11, v44 offset:13056                         // 000000005288: D81A3300 00002C0B
	ds_write_b32 v11, v45 offset:14112                         // 000000005290: D81A3720 00002D0B
	ds_write_b32 v11, v46 offset:15232                         // 000000005298: D81A3B80 00002E0B
	ds_write_b32 v11, v47 offset:16288                         // 0000000052A0: D81A3FA0 00002F0B
	ds_write_b32 v11, v48 offset:17408                         // 0000000052A8: D81A4400 0000300B
	ds_write_b32 v11, v49 offset:18464                         // 0000000052B0: D81A4820 0000310B
	s_waitcnt vmcnt(1) lgkmcnt(0)                              // 0000000052B8: BF8C0071
	s_barrier                                                  // 0000000052BC: BF8A0000
	ds_read_b128 a[72:75], v10                                 // 0000000052C0: DBFE0000 4800000A
	ds_read_b128 a[76:79], v10 offset:512                      // 0000000052C8: DBFE0200 4C00000A
	ds_read_b128 a[80:83], v10 offset:2176                     // 0000000052D0: DBFE0880 5000000A
	ds_read_b128 a[84:87], v10 offset:2688                     // 0000000052D8: DBFE0A80 5400000A
	ds_read_b128 a[88:91], v10 offset:4352                     // 0000000052E0: DBFE1100 5800000A
	ds_read_b128 a[92:95], v10 offset:4864                     // 0000000052E8: DBFE1300 5C00000A
	ds_read_b128 v[80:83], v10 offset:13056                    // 0000000052F0: D9FE3300 5000000A
	ds_read_b128 v[84:87], v10 offset:13568                    // 0000000052F8: D9FE3500 5400000A
	ds_read_b128 v[88:91], v10 offset:15232                    // 000000005300: D9FE3B80 5800000A
	ds_read_b128 v[92:95], v10 offset:15744                    // 000000005308: D9FE3D80 5C00000A
	ds_read_b128 v[96:99], v10 offset:17408                    // 000000005310: D9FE4400 6000000A
	ds_read_b128 v[100:103], v10 offset:17920                  // 000000005318: D9FE4600 6400000A
	ds_read_b32 v128, v21 offset:40704                         // 000000005320: D86C9F00 80000015
	ds_read_b32 v158, v21 offset:40960                         // 000000005328: D86CA000 9E000015
	v_accvgpr_write_b32 a96, 0                                 // 000000005330: D3D94060 18000080
	v_mov_b32_e32 v160, 0                                      // 000000005338: 7F400280
	v_accvgpr_write_b32 a97, 0                                 // 00000000533C: D3D94061 18000080
	v_mov_b32_e32 v161, 0                                      // 000000005344: 7F420280
	v_accvgpr_write_b32 a98, 0                                 // 000000005348: D3D94062 18000080
	v_mov_b32_e32 v162, 0                                      // 000000005350: 7F440280
	v_accvgpr_write_b32 a99, 0                                 // 000000005354: D3D94063 18000080
	v_mov_b32_e32 v163, 0                                      // 00000000535C: 7F460280
	v_accvgpr_write_b32 a100, 0                                // 000000005360: D3D94064 18000080
	v_mov_b32_e32 v164, 0                                      // 000000005368: 7F480280
	v_accvgpr_write_b32 a101, 0                                // 00000000536C: D3D94065 18000080
	v_mov_b32_e32 v165, 0                                      // 000000005374: 7F4A0280
	v_accvgpr_write_b32 a102, 0                                // 000000005378: D3D94066 18000080
	v_mov_b32_e32 v166, 0                                      // 000000005380: 7F4C0280
	v_accvgpr_write_b32 a103, 0                                // 000000005384: D3D94067 18000080
	v_mov_b32_e32 v167, 0                                      // 00000000538C: 7F4E0280
	v_accvgpr_write_b32 a104, 0                                // 000000005390: D3D94068 18000080
	v_mov_b32_e32 v168, 0                                      // 000000005398: 7F500280
	v_accvgpr_write_b32 a105, 0                                // 00000000539C: D3D94069 18000080
	v_mov_b32_e32 v169, 0                                      // 0000000053A4: 7F520280
	v_accvgpr_write_b32 a106, 0                                // 0000000053A8: D3D9406A 18000080
	v_mov_b32_e32 v170, 0                                      // 0000000053B0: 7F540280
	v_accvgpr_write_b32 a107, 0                                // 0000000053B4: D3D9406B 18000080
	v_mov_b32_e32 v171, 0                                      // 0000000053BC: 7F560280
	v_accvgpr_write_b32 a108, 0                                // 0000000053C0: D3D9406C 18000080
	v_mov_b32_e32 v172, 0                                      // 0000000053C8: 7F580280
	v_accvgpr_write_b32 a109, 0                                // 0000000053CC: D3D9406D 18000080
	v_mov_b32_e32 v173, 0                                      // 0000000053D4: 7F5A0280
	v_accvgpr_write_b32 a110, 0                                // 0000000053D8: D3D9406E 18000080
	v_mov_b32_e32 v174, 0                                      // 0000000053E0: 7F5C0280
	v_accvgpr_write_b32 a111, 0                                // 0000000053E4: D3D9406F 18000080
	v_mov_b32_e32 v175, 0                                      // 0000000053EC: 7F5E0280
	v_accvgpr_write_b32 a112, 0                                // 0000000053F0: D3D94070 18000080
	v_mov_b32_e32 v176, 0                                      // 0000000053F8: 7F600280
	v_accvgpr_write_b32 a113, 0                                // 0000000053FC: D3D94071 18000080
	v_mov_b32_e32 v177, 0                                      // 000000005404: 7F620280
	v_accvgpr_write_b32 a114, 0                                // 000000005408: D3D94072 18000080
	v_mov_b32_e32 v178, 0                                      // 000000005410: 7F640280
	v_accvgpr_write_b32 a115, 0                                // 000000005414: D3D94073 18000080
	v_mov_b32_e32 v179, 0                                      // 00000000541C: 7F660280
	v_accvgpr_write_b32 a116, 0                                // 000000005420: D3D94074 18000080
	v_mov_b32_e32 v180, 0                                      // 000000005428: 7F680280
	v_accvgpr_write_b32 a117, 0                                // 00000000542C: D3D94075 18000080
	v_mov_b32_e32 v181, 0                                      // 000000005434: 7F6A0280
	v_accvgpr_write_b32 a118, 0                                // 000000005438: D3D94076 18000080
	v_mov_b32_e32 v182, 0                                      // 000000005440: 7F6C0280
	v_accvgpr_write_b32 a119, 0                                // 000000005444: D3D94077 18000080
	v_mov_b32_e32 v183, 0                                      // 00000000544C: 7F6E0280
	v_accvgpr_write_b32 a120, 0                                // 000000005450: D3D94078 18000080
	v_mov_b32_e32 v184, 0                                      // 000000005458: 7F700280
	v_accvgpr_write_b32 a121, 0                                // 00000000545C: D3D94079 18000080
	v_mov_b32_e32 v185, 0                                      // 000000005464: 7F720280
	v_accvgpr_write_b32 a122, 0                                // 000000005468: D3D9407A 18000080
	v_mov_b32_e32 v186, 0                                      // 000000005470: 7F740280
	v_accvgpr_write_b32 a123, 0                                // 000000005474: D3D9407B 18000080
	v_mov_b32_e32 v187, 0                                      // 00000000547C: 7F760280
	v_accvgpr_write_b32 a124, 0                                // 000000005480: D3D9407C 18000080
	v_mov_b32_e32 v188, 0                                      // 000000005488: 7F780280
	v_accvgpr_write_b32 a125, 0                                // 00000000548C: D3D9407D 18000080
	v_mov_b32_e32 v189, 0                                      // 000000005494: 7F7A0280
	v_accvgpr_write_b32 a126, 0                                // 000000005498: D3D9407E 18000080
	v_mov_b32_e32 v190, 0                                      // 0000000054A0: 7F7C0280
	v_accvgpr_write_b32 a127, 0                                // 0000000054A4: D3D9407F 18000080
	v_mov_b32_e32 v191, 0                                      // 0000000054AC: 7F7E0280
	v_accvgpr_write_b32 a128, 0                                // 0000000054B0: D3D94080 18000080
	v_mov_b32_e32 v192, 0                                      // 0000000054B8: 7F800280
	v_accvgpr_write_b32 a129, 0                                // 0000000054BC: D3D94081 18000080
	v_mov_b32_e32 v193, 0                                      // 0000000054C4: 7F820280
	v_accvgpr_write_b32 a130, 0                                // 0000000054C8: D3D94082 18000080
	v_mov_b32_e32 v194, 0                                      // 0000000054D0: 7F840280
	v_accvgpr_write_b32 a131, 0                                // 0000000054D4: D3D94083 18000080
	v_mov_b32_e32 v195, 0                                      // 0000000054DC: 7F860280
	v_accvgpr_write_b32 a132, 0                                // 0000000054E0: D3D94084 18000080
	v_mov_b32_e32 v196, 0                                      // 0000000054E8: 7F880280
	v_accvgpr_write_b32 a133, 0                                // 0000000054EC: D3D94085 18000080
	v_mov_b32_e32 v197, 0                                      // 0000000054F4: 7F8A0280
	v_accvgpr_write_b32 a134, 0                                // 0000000054F8: D3D94086 18000080
	v_mov_b32_e32 v198, 0                                      // 000000005500: 7F8C0280
	v_accvgpr_write_b32 a135, 0                                // 000000005504: D3D94087 18000080
	v_mov_b32_e32 v199, 0                                      // 00000000550C: 7F8E0280
	v_accvgpr_write_b32 a136, 0                                // 000000005510: D3D94088 18000080
	v_mov_b32_e32 v200, 0                                      // 000000005518: 7F900280
	v_accvgpr_write_b32 a137, 0                                // 00000000551C: D3D94089 18000080
	v_mov_b32_e32 v201, 0                                      // 000000005524: 7F920280
	v_accvgpr_write_b32 a138, 0                                // 000000005528: D3D9408A 18000080
	v_mov_b32_e32 v202, 0                                      // 000000005530: 7F940280
	v_accvgpr_write_b32 a139, 0                                // 000000005534: D3D9408B 18000080
	v_mov_b32_e32 v203, 0                                      // 00000000553C: 7F960280
	v_accvgpr_write_b32 a140, 0                                // 000000005540: D3D9408C 18000080
	v_mov_b32_e32 v204, 0                                      // 000000005548: 7F980280
	v_accvgpr_write_b32 a141, 0                                // 00000000554C: D3D9408D 18000080
	v_mov_b32_e32 v205, 0                                      // 000000005554: 7F9A0280
	v_accvgpr_write_b32 a142, 0                                // 000000005558: D3D9408E 18000080
	v_mov_b32_e32 v206, 0                                      // 000000005560: 7F9C0280
	v_accvgpr_write_b32 a143, 0                                // 000000005564: D3D9408F 18000080
	v_mov_b32_e32 v207, 0                                      // 00000000556C: 7F9E0280
	v_mov_b32_e32 v144, 0                                      // 000000005570: 7F200280
	v_mov_b32_e32 v145, 0                                      // 000000005574: 7F220280
	v_mov_b32_e32 v146, 0                                      // 000000005578: 7F240280
	v_mov_b32_e32 v147, 0                                      // 00000000557C: 7F260280
	v_mov_b32_e32 v148, 0                                      // 000000005580: 7F280280
	v_mov_b32_e32 v149, 0                                      // 000000005584: 7F2A0280
	v_mov_b32_e32 v150, 0                                      // 000000005588: 7F2C0280
	v_mov_b32_e32 v151, 0                                      // 00000000558C: 7F2E0280
	v_mov_b32_e32 v152, 0                                      // 000000005590: 7F300280
	v_mov_b32_e32 v153, 0                                      // 000000005594: 7F320280
	v_mov_b32_e32 v154, 0                                      // 000000005598: 7F340280
	v_mov_b32_e32 v155, 0                                      // 00000000559C: 7F360280
	v_mov_b32_e32 v132, 0                                      // 0000000055A0: 7F080280
	v_mov_b32_e32 v133, 0                                      // 0000000055A4: 7F0A0280
	v_mov_b32_e32 v134, 0                                      // 0000000055A8: 7F0C0280
	v_mov_b32_e32 v135, 0                                      // 0000000055AC: 7F0E0280
	v_mov_b32_e32 v136, 0                                      // 0000000055B0: 7F100280
	v_mov_b32_e32 v137, 0                                      // 0000000055B4: 7F120280
	v_mov_b32_e32 v138, 0                                      // 0000000055B8: 7F140280
	v_mov_b32_e32 v139, 0                                      // 0000000055BC: 7F160280
	v_mov_b32_e32 v140, 0                                      // 0000000055C0: 7F180280
	v_mov_b32_e32 v141, 0                                      // 0000000055C4: 7F1A0280
	v_mov_b32_e32 v142, 0                                      // 0000000055C8: 7F1C0280
	v_mov_b32_e32 v143, 0                                      // 0000000055CC: 7F1E0280
	s_waitcnt lgkmcnt(0)                                       // 0000000055D0: BF8CC07F
	s_barrier                                                  // 0000000055D4: BF8A0000
	buffer_load_dword v32, v1, s[8:11], 0 idxen                // 0000000055D8: E0502000 80022001
	buffer_load_dword v33, v2, s[8:11], 0 idxen                // 0000000055E0: E0502000 80022102
	buffer_load_dword v34, v1, s[8:11], 0 idxen offset:128     // 0000000055E8: E0502080 80022201
	buffer_load_dword v35, v2, s[8:11], 0 idxen offset:128     // 0000000055F0: E0502080 80022302
	v_mov_b32_e32 v36, 0                                       // 0000000055F8: 7E480280
	s_mov_b64 exec, s[80:81]                                   // 0000000055FC: BEFE0150
	buffer_load_dword v36, v1, s[8:11], 0 idxen offset:256     // 000000005600: E0502100 80022401
	s_mov_b32 exec_lo, -1                                      // 000000005608: BEFE00C1
	s_mov_b32 exec_hi, -1                                      // 00000000560C: BEFF00C1
	v_mov_b32_e32 v37, 0                                       // 000000005610: 7E4A0280
	s_mov_b64 exec, s[80:81]                                   // 000000005614: BEFE0150
	buffer_load_dword v37, v2, s[8:11], 0 idxen offset:256     // 000000005618: E0502100 80022502
	s_mov_b32 exec_lo, -1                                      // 000000005620: BEFE00C1
	s_mov_b32 exec_hi, -1                                      // 000000005624: BEFF00C1
	buffer_load_dword v44, v208, s[20:23], 0 idxen             // 000000005628: E0502000 80052CD0
	buffer_load_dword v45, v209, s[20:23], 0 idxen             // 000000005630: E0502000 80052DD1
	buffer_load_dword v46, v208, s[20:23], 0 idxen offset:128  // 000000005638: E0502080 80052ED0
	buffer_load_dword v47, v209, s[20:23], 0 idxen offset:128  // 000000005640: E0502080 80052FD1
	v_mov_b32_e32 v48, 0                                       // 000000005648: 7E600280
	s_mov_b64 exec, s[80:81]                                   // 00000000564C: BEFE0150
	buffer_load_dword v48, v208, s[20:23], 0 idxen offset:256  // 000000005650: E0502100 800530D0
	s_mov_b32 exec_lo, -1                                      // 000000005658: BEFE00C1
	s_mov_b32 exec_hi, -1                                      // 00000000565C: BEFF00C1
	v_mov_b32_e32 v49, 0                                       // 000000005660: 7E620280
	s_mov_b64 exec, s[80:81]                                   // 000000005664: BEFE0150
	buffer_load_dword v49, v209, s[20:23], 0 idxen offset:256  // 000000005668: E0502100 800531D1
	s_mov_b32 exec_lo, -1                                      // 000000005670: BEFE00C1
	s_mov_b32 exec_hi, -1                                      // 000000005674: BEFF00C1
	buffer_load_dword v9, s[24:27], 0 idxen lds                // 000000005678: E0512000 80060009
	s_mov_b32 m0, s79                                          // 000000005680: BEFC004F
	v_add_u32_e32 v9, s69, v9                                  // 000000005684: 68121245
	v_add_u32_e32 v1, s68, v1                                  // 000000005688: 68020244
	v_add_u32_e32 v2, s68, v2                                  // 00000000568C: 68040444
	v_add_u32_e32 v208, s100, v208                             // 000000005690: 69A1A064
	v_add_u32_e32 v209, s100, v209                             // 000000005694: 69A3A264
	v_mul_f32_e32 v128, s48, v128                              // 000000005698: 0B010030
	v_perm_b32 v68, v39, v38, s63                              // 00000000569C: D1ED0044 00FE4D27
	v_perm_b32 v69, v39, v38, s64                              // 0000000056A4: D1ED0045 01024D27
	v_perm_b32 v70, v41, v40, s63                              // 0000000056AC: D1ED0046 00FE5129
	v_perm_b32 v71, v41, v40, s64                              // 0000000056B4: D1ED0047 01025129
	v_perm_b32 v72, v43, v42, s63                              // 0000000056BC: D1ED0048 00FE552B
	v_perm_b32 v73, v43, v42, s64                              // 0000000056C4: D1ED0049 0102552B
	v_perm_b32 v74, v51, v50, s63                              // 0000000056CC: D1ED004A 00FE6533
	v_perm_b32 v75, v51, v50, s64                              // 0000000056D4: D1ED004B 01026533
	v_perm_b32 v76, v53, v52, s63                              // 0000000056DC: D1ED004C 00FE6935
	v_perm_b32 v77, v53, v52, s64                              // 0000000056E4: D1ED004D 01026935
	v_perm_b32 v78, v55, v54, s63                              // 0000000056EC: D1ED004E 00FE6D37
	v_perm_b32 v79, v55, v54, s64                              // 0000000056F4: D1ED004F 01026D37
	v_mov_b32_dpp v131, v128 quad_perm:[3,3,3,3] row_mask:0xf bank_mask:0xf// 0000000056FC: 7F0602FA FF00FF80
	v_mov_b32_dpp v130, v128 quad_perm:[2,2,2,2] row_mask:0xf bank_mask:0xf// 000000005704: 7F0402FA FF00AA80
	v_mov_b32_dpp v129, v128 quad_perm:[1,1,1,1] row_mask:0xf bank_mask:0xf// 00000000570C: 7F0202FA FF005580
	v_mov_b32_dpp v128, v128 quad_perm:[0,0,0,0] row_mask:0xf bank_mask:0xf// 000000005714: 7F0002FA FF000080
	s_waitcnt vmcnt(13)                                        // 00000000571C: BF8C0F7D
	s_barrier                                                  // 000000005720: BF8A0000
	s_cmp_lt_i32 s46, 2                                        // 000000005724: BF04822E
	s_cbranch_scc0 label_0A49                                  // 000000005728: BF8403FE

000000000000572c <label_064B>:
	s_waitcnt lgkmcnt(0)                                       // 00000000572C: BF8CC07F
	s_barrier                                                  // 000000005730: BF8A0000
	v_mfma_f32_16x16x16_f16 v[56:59], a[72:73], a[0:1], 0      // 000000005734: D3CD0038 1A020148
	ds_write_b32 v11, v50 offset:13056                         // 00000000573C: D81A3300 0000320B
	ds_write_b32 v11, v51 offset:14112                         // 000000005744: D81A3720 0000330B
	ds_write_b32 v11, v52 offset:15232                         // 00000000574C: D81A3B80 0000340B
	v_mfma_f32_16x16x16_f16 v[56:59], a[74:75], a[2:3], v[56:59]// 000000005754: D3CD0038 1CE2054A
	v_mul_f32_e32 v132, s47, v132                              // 00000000575C: 0B09082F
	v_mul_f32_e32 v133, s47, v133                              // 000000005760: 0B0B0A2F
	v_mul_f32_e32 v134, s47, v134                              // 000000005764: 0B0D0C2F
	v_mul_f32_e32 v135, s47, v135                              // 000000005768: 0B0F0E2F
	v_mfma_f32_16x16x16_f16 v[56:59], a[76:77], a[4:5], v[56:59]// 00000000576C: D3CD0038 1CE2094C
	ds_write_b32 v11, v53 offset:16288                         // 000000005774: D81A3FA0 0000350B
	ds_write_b32 v11, v54 offset:17408                         // 00000000577C: D81A4400 0000360B
	ds_write_b32 v11, v55 offset:18464                         // 000000005784: D81A4820 0000370B
	v_mfma_f32_16x16x16_f16 v[56:59], a[78:79], a[6:7], v[56:59]// 00000000578C: D3CD0038 1CE20D4E
	v_mul_f32_e32 v136, s47, v136                              // 000000005794: 0B11102F
	v_mul_f32_e32 v137, s47, v137                              // 000000005798: 0B13122F
	v_mul_f32_e32 v138, s47, v138                              // 00000000579C: 0B15142F
	v_mul_f32_e32 v139, s47, v139                              // 0000000057A0: 0B17162F
	v_mfma_f32_16x16x16_f16 v[56:59], a[80:81], a[8:9], v[56:59]// 0000000057A4: D3CD0038 1CE21150
	ds_write_b64 v20, v[132:133] offset:28416                  // 0000000057AC: D89A6F00 00008414
	ds_write_b64 v20, v[134:135] offset:28928                  // 0000000057B4: D89A7100 00008614
	v_mfma_f32_16x16x16_f16 v[56:59], a[82:83], a[10:11], v[56:59]// 0000000057BC: D3CD0038 1CE21552
	v_mul_f32_e32 v140, s47, v140                              // 0000000057C4: 0B19182F
	v_mul_f32_e32 v141, s47, v141                              // 0000000057C8: 0B1B1A2F
	v_mul_f32_e32 v142, s47, v142                              // 0000000057CC: 0B1D1C2F
	v_mul_f32_e32 v143, s47, v143                              // 0000000057D0: 0B1F1E2F
	v_mfma_f32_16x16x16_f16 v[56:59], a[84:85], a[12:13], v[56:59]// 0000000057D4: D3CD0038 1CE21954
	ds_write_b64 v20, v[136:137] offset:29440                  // 0000000057DC: D89A7300 00008814
	ds_write_b64 v20, v[138:139] offset:29952                  // 0000000057E4: D89A7500 00008A14
	v_mfma_f32_16x16x16_f16 v[56:59], a[86:87], a[14:15], v[56:59]// 0000000057EC: D3CD0038 1CE21D56
	ds_write_b64 v20, v[140:141] offset:30464                  // 0000000057F4: D89A7700 00008C14
	ds_write_b64 v20, v[142:143] offset:30976                  // 0000000057FC: D89A7900 00008E14
	v_mfma_f32_16x16x16_f16 v[56:59], a[88:89], a[16:17], v[56:59]// 000000005804: D3CD0038 1CE22158
	ds_read_b128 v[104:107], v12 offset:19584                  // 00000000580C: D9FE4C80 6800000C
	v_mfma_f32_16x16x16_f16 v[56:59], a[90:91], a[18:19], v[56:59]// 000000005814: D3CD0038 1CE2255A
	ds_read_b128 v[108:111], v12 offset:20096                  // 00000000581C: D9FE4E80 6C00000C
	v_mfma_f32_16x16x16_f16 v[56:59], a[92:93], a[20:21], v[56:59]// 000000005824: D3CD0038 1CE2295C
	ds_read_b128 v[112:115], v12 offset:21760                  // 00000000582C: D9FE5500 7000000C
	ds_read_b128 v[116:119], v12 offset:22272                  // 000000005834: D9FE5700 7400000C
	v_mfma_f32_16x16x16_f16 v[56:59], a[94:95], a[22:23], v[56:59]// 00000000583C: D3CD0038 1CE22D5E
	ds_read_b128 v[120:123], v12 offset:23936                  // 000000005844: D9FE5D80 7800000C
	ds_read_b128 v[124:127], v12 offset:24448                  // 00000000584C: D9FE5F80 7C00000C
	s_cmp_lt_i32 s74, 4                                        // 000000005854: BF04844A
	s_cbranch_scc0 label_06C1                                  // 000000005858: BF84002A
	s_mov_b32 s60, 0xffe0fffe                                  // 00000000585C: BEBC00FF FFE0FFFE
	s_mov_b32 s61, 0xe000fe00                                  // 000000005864: BEBD00FF E000FE00
	s_nop 0                                                    // 00000000586C: BF800000
	s_cmp_lt_i32 s74, s46                                      // 000000005870: BF042E4A
	s_cbranch_scc1 label_06BC                                  // 000000005874: BF85001E
	s_cmp_eq_i32 s74, s46                                      // 000000005878: BF002E4A
	s_cbranch_scc1 label_06A1                                  // 00000000587C: BF850001
	s_branch label_06C1                                        // 000000005880: BF820020

0000000000005884 <label_06A1>:
	v_cndmask_b32_e64 v56, v56, v159, s[60:61]                 // 000000005884: D1000038 00F33F38
	s_lshl_b32 s60, s60, 1                                     // 00000000588C: 8E3C813C
	s_lshl_b32 s61, s61, 1                                     // 000000005890: 8E3D813D
	s_and_b32 s60, 0xfffeffff, s60                             // 000000005894: 863C3CFF FFFEFFFF
	s_and_b32 s61, 0xfffeffff, s61                             // 00000000589C: 863D3DFF FFFEFFFF
	v_cndmask_b32_e64 v57, v57, v159, s[60:61]                 // 0000000058A4: D1000039 00F33F39
	s_lshl_b32 s60, s60, 1                                     // 0000000058AC: 8E3C813C
	s_lshl_b32 s61, s61, 1                                     // 0000000058B0: 8E3D813D
	s_and_b32 s60, 0xfffeffff, s60                             // 0000000058B4: 863C3CFF FFFEFFFF
	s_and_b32 s61, 0xfffeffff, s61                             // 0000000058BC: 863D3DFF FFFEFFFF
	v_cndmask_b32_e64 v58, v58, v159, s[60:61]                 // 0000000058C4: D100003A 00F33F3A
	s_lshl_b32 s60, s60, 1                                     // 0000000058CC: 8E3C813C
	s_lshl_b32 s61, s61, 1                                     // 0000000058D0: 8E3D813D
	s_and_b32 s60, 0xfffeffff, s60                             // 0000000058D4: 863C3CFF FFFEFFFF
	s_and_b32 s61, 0xfffeffff, s61                             // 0000000058DC: 863D3DFF FFFEFFFF
	v_cndmask_b32_e64 v59, v59, v159, s[60:61]                 // 0000000058E4: D100003B 00F33F3B
	s_branch label_06C1                                        // 0000000058EC: BF820005

00000000000058f0 <label_06BC>:
	v_mov_b32_e32 v56, v159                                    // 0000000058F0: 7E70039F
	v_mov_b32_e32 v57, v159                                    // 0000000058F4: 7E72039F
	v_mov_b32_e32 v58, v159                                    // 0000000058F8: 7E74039F
	v_mov_b32_e32 v59, v159                                    // 0000000058FC: 7E76039F
	s_branch label_06C1                                        // 000000005900: BF820000

0000000000005904 <label_06C1>:
	s_cmp_lt_i32 s84, 64                                       // 000000005904: BF04C054
	s_cbranch_scc0 label_06D2                                  // 000000005908: BF84000F
	v_and_b32_e32 v28, 15, v0                                  // 00000000590C: 2638008F
	v_mul_i32_i24_e64 v29, s46, 16                             // 000000005910: D106001D 0001202E
	v_add_u32_e32 v28, v28, v29                                // 000000005918: 68383B1C
	v_cmp_lt_u32_e64 s[60:61], v28, s84                        // 00000000591C: D0C9003C 0000A91C
	s_nop 1                                                    // 000000005924: BF800001
	v_cndmask_b32_e64 v56, v159, v56, s[60:61]                 // 000000005928: D1000038 00F2719F
	v_cndmask_b32_e64 v57, v159, v57, s[60:61]                 // 000000005930: D1000039 00F2739F
	v_cndmask_b32_e64 v58, v159, v58, s[60:61]                 // 000000005938: D100003A 00F2759F
	v_cndmask_b32_e64 v59, v159, v59, s[60:61]                 // 000000005940: D100003B 00F2779F

0000000000005948 <label_06D2>:
	s_addk_i32 s74, 0x1                                        // 000000005948: B74A0001
	s_waitcnt lgkmcnt(6)                                       // 00000000594C: BF8CC67F
	s_barrier                                                  // 000000005950: BF8A0000
	v_mfma_f32_16x16x16_f16 v[64:67], v[80:81], a[48:49], 0    // 000000005954: D3CD0040 12026150
	ds_read_b128 a[72:75], v12 offset:6528                     // 00000000595C: DBFE1980 4800000C
	ds_read_b128 a[76:79], v12 offset:7040                     // 000000005964: DBFE1B80 4C00000C
	ds_write_b32 v11, v38                                      // 00000000596C: D81A0000 0000260B
	ds_write_b32 v11, v39 offset:1056                          // 000000005974: D81A0420 0000270B
	v_mfma_f32_16x16x16_f16 v[64:67], v[82:83], a[50:51], v[64:67]// 00000000597C: D3CD0040 15026552
	v_fma_f32 v56, v56, s57, -v128                             // 000000005984: D1CB0038 86007338
	v_fma_f32 v57, v57, s57, -v129                             // 00000000598C: D1CB0039 86047339
	v_fma_f32 v58, v58, s57, -v130                             // 000000005994: D1CB003A 8608733A
	v_fma_f32 v59, v59, s57, -v131                             // 00000000599C: D1CB003B 860C733B
	v_mfma_f32_16x16x16_f16 v[64:67], v[84:85], a[52:53], v[64:67]// 0000000059A4: D3CD0040 15026954
	ds_read_b128 a[80:83], v12 offset:8704                     // 0000000059AC: DBFE2200 5000000C
	ds_read_b128 a[84:87], v12 offset:9216                     // 0000000059B4: DBFE2400 5400000C
	ds_write_b32 v11, v40 offset:2176                          // 0000000059BC: D81A0880 0000280B
	v_mfma_f32_16x16x16_f16 v[64:67], v[86:87], a[54:55], v[64:67]// 0000000059C4: D3CD0040 15026D56
	v_exp_f32_e32 v56, v56                                     // 0000000059CC: 7E704138
	v_mfma_f32_16x16x16_f16 v[64:67], v[88:89], a[56:57], v[64:67]// 0000000059D0: D3CD0040 15027158
	ds_read_b128 a[88:91], v12 offset:10880                    // 0000000059D8: DBFE2A80 5800000C
	ds_read_b128 a[92:95], v12 offset:11392                    // 0000000059E0: DBFE2C80 5C00000C
	ds_write_b32 v11, v41 offset:3232                          // 0000000059E8: D81A0CA0 0000290B
	v_mfma_f32_16x16x16_f16 v[64:67], v[90:91], a[58:59], v[64:67]// 0000000059F0: D3CD0040 1502755A
	v_exp_f32_e32 v57, v57                                     // 0000000059F8: 7E724139
	v_mfma_f32_16x16x16_f16 v[64:67], v[92:93], a[60:61], v[64:67]// 0000000059FC: D3CD0040 1502795C
	ds_read_b64 v[144:145], v19 offset:28416                   // 000000005A04: D8EC6F00 90000013
	ds_read_b64 v[146:147], v19 offset:30464                   // 000000005A0C: D8EC7700 92000013
	ds_read_b64 v[148:149], v19 offset:32512                   // 000000005A14: D8EC7F00 94000013
	ds_write_b32 v11, v42 offset:4352                          // 000000005A1C: D81A1100 00002A0B
	v_mfma_f32_16x16x16_f16 v[64:67], v[94:95], a[62:63], v[64:67]// 000000005A24: D3CD0040 15027D5E
	v_exp_f32_e32 v58, v58                                     // 000000005A2C: 7E74413A
	v_mfma_f32_16x16x16_f16 v[64:67], v[96:97], a[64:65], v[64:67]// 000000005A30: D3CD0040 15028160
	ds_read_b64 v[150:151], v19 offset:34560                   // 000000005A38: D8EC8700 96000013
	ds_read_b64 v[152:153], v19 offset:36608                   // 000000005A40: D8EC8F00 98000013
	ds_read_b64 v[154:155], v19 offset:38656                   // 000000005A48: D8EC9700 9A000013
	ds_write_b32 v11, v43 offset:5408                          // 000000005A50: D81A1520 00002B0B
	v_mfma_f32_16x16x16_f16 v[64:67], v[98:99], a[66:67], v[64:67]// 000000005A58: D3CD0040 15028562
	v_exp_f32_e32 v59, v59                                     // 000000005A60: 7E76413B
	v_mfma_f32_16x16x16_f16 v[64:67], v[100:101], a[68:69], v[64:67]// 000000005A64: D3CD0040 15028964
	v_cvt_pkrtz_f16_f32 v156, v56, v57                         // 000000005A6C: D296009C 00027338
	v_mfma_f32_16x16x16_f16 v[64:67], v[102:103], a[70:71], v[64:67]// 000000005A74: D3CD0040 15028D66
	v_cvt_pkrtz_f16_f32 v157, v58, v59                         // 000000005A7C: D296009D 0002773A
	v_add_u32_e32 v7, s66, v7                                  // 000000005A84: 680E0E42
	v_add_u32_e32 v8, s66, v8                                  // 000000005A88: 68101042
	s_waitcnt lgkmcnt(0)                                       // 000000005A8C: BF8CC07F
	s_barrier                                                  // 000000005A90: BF8A0000
	v_mfma_f32_16x16x16_f16 v[160:163], v[104:105], v[156:157], v[160:163]// 000000005A94: D3CD00A0 06833968
	v_subrev_f32_dpp v64, v158, v64 quad_perm:[0,0,0,0] row_mask:0xf bank_mask:0xf// 000000005A9C: 068080FA FF00009E
	v_subrev_f32_dpp v65, v158, v65 quad_perm:[1,1,1,1] row_mask:0xf bank_mask:0xf// 000000005AA4: 068282FA FF00559E
	buffer_atomic_add_f32 v144, v7, s[32:35], 0 offen          // 000000005AAC: E1341000 80089007
	v_mfma_f32_16x16x16_f16 v[164:167], v[106:107], v[156:157], v[164:167]// 000000005AB4: D3CD00A4 0693396A
	v_subrev_f32_dpp v66, v158, v66 quad_perm:[2,2,2,2] row_mask:0xf bank_mask:0xf// 000000005ABC: 068484FA FF00AA9E
	v_subrev_f32_dpp v67, v158, v67 quad_perm:[3,3,3,3] row_mask:0xf bank_mask:0xf// 000000005AC4: 068686FA FF00FF9E
	buffer_atomic_add_f32 v145, v8, s[32:35], 0 offen          // 000000005ACC: E1341000 80089108
	v_mfma_f32_16x16x16_f16 v[168:171], v[108:109], v[156:157], v[168:171]// 000000005AD4: D3CD00A8 06A3396C
	v_mul_f32_e32 v64, v56, v64                                // 000000005ADC: 0A808138
	v_mul_f32_e32 v65, v57, v65                                // 000000005AE0: 0A828339
	buffer_atomic_add_f32 v146, v7, s[32:35], 0 offen offset:128// 000000005AE4: E1341080 80089207
	v_mfma_f32_16x16x16_f16 v[172:175], v[110:111], v[156:157], v[172:175]// 000000005AEC: D3CD00AC 06B3396E
	v_mul_f32_e32 v66, v58, v66                                // 000000005AF4: 0A84853A
	v_mul_f32_e32 v67, v59, v67                                // 000000005AF8: 0A86873B
	buffer_atomic_add_f32 v147, v8, s[32:35], 0 offen offset:128// 000000005AFC: E1341080 80089308
	v_mfma_f32_16x16x16_f16 v[176:179], v[112:113], v[156:157], v[176:179]// 000000005B04: D3CD00B0 06C33970
	v_cvt_pkrtz_f16_f32 v64, v64, v65                          // 000000005B0C: D2960040 00028340
	v_mfma_f32_16x16x16_f16 v[180:183], v[114:115], v[156:157], v[180:183]// 000000005B14: D3CD00B4 06D33972
	v_cvt_pkrtz_f16_f32 v65, v66, v67                          // 000000005B1C: D2960041 00028742
	v_mfma_f32_16x16x16_f16 v[184:187], v[116:117], v[156:157], v[184:187]// 000000005B24: D3CD00B8 06E33974
	v_mov_b32_dpp v16, v64 quad_perm:[1,0,3,2] row_mask:0xf bank_mask:0xf// 000000005B2C: 7E2002FA FF00B140
	v_perm_b32 v56, v16, v64, v15                              // 000000005B34: D1ED0038 043E8110
	buffer_atomic_add_f32 v148, v7, s[32:35], 0 offen offset:256// 000000005B3C: E1341100 80089407
	v_mfma_f32_16x16x16_f16 v[188:191], v[118:119], v[156:157], v[188:191]// 000000005B44: D3CD00BC 06F33976
	v_mov_b32_dpp v16, v65 quad_perm:[1,0,3,2] row_mask:0xf bank_mask:0xf// 000000005B4C: 7E2002FA FF00B141
	v_perm_b32 v57, v16, v65, v15                              // 000000005B54: D1ED0039 043E8310
	buffer_atomic_add_f32 v149, v8, s[32:35], 0 offen offset:256// 000000005B5C: E1341100 80089508
	v_mfma_f32_16x16x16_f16 v[192:195], v[120:121], v[156:157], v[192:195]// 000000005B64: D3CD00C0 07033978
	ds_write_b32 v13, v68 offset:6528                          // 000000005B6C: D81A1980 0000440D
	ds_write_b32 v13, v69 offset:7584                          // 000000005B74: D81A1DA0 0000450D
	v_mfma_f32_16x16x16_f16 v[196:199], v[122:123], v[156:157], v[196:199]// 000000005B7C: D3CD00C4 0713397A
	ds_write_b32 v18, v56 offset:26112                         // 000000005B84: D81A6600 00003812
	ds_write_b32 v18, v57 offset:26656                         // 000000005B8C: D81A6820 00003912
	v_mfma_f32_16x16x16_f16 v[200:203], v[124:125], v[156:157], v[200:203]// 000000005B94: D3CD00C8 0723397C
	ds_write_b32 v13, v70 offset:8704                          // 000000005B9C: D81A2200 0000460D
	ds_write_b32 v13, v71 offset:9760                          // 000000005BA4: D81A2620 0000470D
	v_mfma_f32_16x16x16_f16 v[204:207], v[126:127], v[156:157], v[204:207]// 000000005BAC: D3CD00CC 0733397E
	ds_write_b32 v13, v72 offset:10880                         // 000000005BB4: D81A2A80 0000480D
	ds_write_b32 v13, v73 offset:11936                         // 000000005BBC: D81A2EA0 0000490D
	s_barrier                                                  // 000000005BC4: BF8A0000
	v_mfma_f32_16x16x16_f16 a[96:99], a[72:73], v[64:65], a[96:99]// 000000005BC8: D3CD8060 0D828148
	buffer_atomic_add_f32 v150, v7, s[32:35], 0 offen offset:384// 000000005BD0: E1341180 80089607
	buffer_atomic_add_f32 v151, v8, s[32:35], 0 offen offset:384// 000000005BD8: E1341180 80089708
	v_mfma_f32_16x16x16_f16 a[100:103], a[74:75], v[64:65], a[100:103]// 000000005BE0: D3CD8064 0D92814A
	ds_read_b32 v128, v21 offset:41216                         // 000000005BE8: D86CA100 80000015
	ds_read_b32 v158, v21 offset:41472                         // 000000005BF0: D86CA200 9E000015
	v_mfma_f32_16x16x16_f16 a[104:107], a[76:77], v[64:65], a[104:107]// 000000005BF8: D3CD8068 0DA2814C
	s_waitcnt lgkmcnt(6)                                       // 000000005C00: BF8CC67F
	s_barrier                                                  // 000000005C04: BF8A0000
	v_mfma_f32_16x16x16_f16 a[108:111], a[78:79], v[64:65], a[108:111]// 000000005C08: D3CD806C 0DB2814E
	ds_read_b128 v[56:59], v17 offset:26112                    // 000000005C10: D9FE6600 38000011
	v_mfma_f32_16x16x16_f16 a[112:115], a[80:81], v[64:65], a[112:115]// 000000005C18: D3CD8070 0DC28150
	s_mov_b64 exec, s[82:83]                                   // 000000005C20: BEFE0152
	buffer_atomic_add_f32 v152, v7, s[32:35], 0 offen offset:512// 000000005C24: E1341200 80089807
	s_mov_b32 exec_lo, -1                                      // 000000005C2C: BEFE00C1
	s_mov_b32 exec_hi, -1                                      // 000000005C30: BEFF00C1
	v_mfma_f32_16x16x16_f16 a[116:119], a[82:83], v[64:65], a[116:119]// 000000005C34: D3CD8074 0DD28152
	ds_read_b128 v[60:63], v17 offset:27264                    // 000000005C3C: D9FE6A80 3C000011
	v_mfma_f32_16x16x16_f16 a[120:123], a[84:85], v[64:65], a[120:123]// 000000005C44: D3CD8078 0DE28154
	s_mov_b64 exec, s[82:83]                                   // 000000005C4C: BEFE0152
	buffer_atomic_add_f32 v153, v8, s[32:35], 0 offen offset:512// 000000005C50: E1341200 80089908
	s_mov_b32 exec_lo, -1                                      // 000000005C58: BEFE00C1
	s_mov_b32 exec_hi, -1                                      // 000000005C5C: BEFF00C1
	v_mfma_f32_16x16x16_f16 a[124:127], a[86:87], v[64:65], a[124:127]// 000000005C60: D3CD807C 0DF28156
	ds_write_b32 v13, v74 offset:19584                         // 000000005C68: D81A4C80 00004A0D
	ds_write_b32 v13, v75 offset:20640                         // 000000005C70: D81A50A0 00004B0D
	v_mfma_f32_16x16x16_f16 a[128:131], a[88:89], v[64:65], a[128:131]// 000000005C78: D3CD8080 0E028158
	s_mov_b64 exec, s[92:93]                                   // 000000005C80: BEFE015C
	buffer_atomic_add_f32 v154, v7, s[32:35], 0 offen offset:640// 000000005C84: E1341280 80089A07
	s_mov_b32 exec_lo, -1                                      // 000000005C8C: BEFE00C1
	s_mov_b32 exec_hi, -1                                      // 000000005C90: BEFF00C1
	v_mfma_f32_16x16x16_f16 a[132:135], a[90:91], v[64:65], a[132:135]// 000000005C94: D3CD8084 0E12815A
	ds_write_b32 v13, v76 offset:21760                         // 000000005C9C: D81A5500 00004C0D
	ds_write_b32 v13, v77 offset:22816                         // 000000005CA4: D81A5920 00004D0D
	v_mfma_f32_16x16x16_f16 a[136:139], a[92:93], v[64:65], a[136:139]// 000000005CAC: D3CD8088 0E22815C
	s_mov_b64 exec, s[92:93]                                   // 000000005CB4: BEFE015C
	buffer_atomic_add_f32 v155, v8, s[32:35], 0 offen offset:640// 000000005CB8: E1341280 80089B08
	s_mov_b32 exec_lo, -1                                      // 000000005CC0: BEFE00C1
	s_mov_b32 exec_hi, -1                                      // 000000005CC4: BEFF00C1
	v_mfma_f32_16x16x16_f16 a[140:143], a[94:95], v[64:65], a[140:143]// 000000005CC8: D3CD808C 0E32815E
	ds_write_b32 v13, v78 offset:23936                         // 000000005CD0: D81A5D80 00004E0D
	ds_write_b32 v13, v79 offset:24992                         // 000000005CD8: D81A61A0 00004F0D
	s_waitcnt vmcnt(12) lgkmcnt(6)                             // 000000005CE0: BF8C067C
	s_barrier                                                  // 000000005CE4: BF8A0000
	v_mfma_f32_16x16x16_f16 v[132:135], v[56:57], a[24:25], 0  // 000000005CE8: D3CD0084 12023138
	v_mul_f32_e32 v128, s48, v128                              // 000000005CF0: 0B010030
	v_perm_b32 v68, v33, v32, s63                              // 000000005CF4: D1ED0044 00FE4121
	v_perm_b32 v69, v33, v32, s64                              // 000000005CFC: D1ED0045 01024121
	v_perm_b32 v70, v35, v34, s63                              // 000000005D04: D1ED0046 00FE4523
	v_mfma_f32_16x16x16_f16 v[132:135], v[58:59], a[30:31], v[132:135]// 000000005D0C: D3CD0084 16123D3A
	ds_read_b128 a[72:75], v10                                 // 000000005D14: DBFE0000 4800000A
	ds_read_b128 a[76:79], v10 offset:512                      // 000000005D1C: DBFE0200 4C00000A
	ds_read_b128 a[80:83], v10 offset:2176                     // 000000005D24: DBFE0880 5000000A
	buffer_load_dword v38, v1, s[8:11], 0 idxen                // 000000005D2C: E0502000 80022601
	buffer_load_dword v39, v2, s[8:11], 0 idxen                // 000000005D34: E0502000 80022702
	v_mfma_f32_16x16x16_f16 v[132:135], v[60:61], a[36:37], v[132:135]// 000000005D3C: D3CD0084 1612493C
	v_perm_b32 v71, v35, v34, s64                              // 000000005D44: D1ED0047 01024523
	v_perm_b32 v72, v37, v36, s63                              // 000000005D4C: D1ED0048 00FE4925
	v_perm_b32 v73, v37, v36, s64                              // 000000005D54: D1ED0049 01024925
	v_mfma_f32_16x16x16_f16 v[132:135], v[62:63], a[42:43], v[132:135]// 000000005D5C: D3CD0084 1612553E
	ds_read_b128 a[84:87], v10 offset:2688                     // 000000005D64: DBFE0A80 5400000A
	ds_read_b128 a[88:91], v10 offset:4352                     // 000000005D6C: DBFE1100 5800000A
	ds_read_b128 a[92:95], v10 offset:4864                     // 000000005D74: DBFE1300 5C00000A
	buffer_load_dword v40, v1, s[8:11], 0 idxen offset:128     // 000000005D7C: E0502080 80022801
	buffer_load_dword v41, v2, s[8:11], 0 idxen offset:128     // 000000005D84: E0502080 80022902
	v_mfma_f32_16x16x16_f16 v[136:139], v[56:57], a[26:27], 0  // 000000005D8C: D3CD0088 12023538
	v_perm_b32 v74, v45, v44, s63                              // 000000005D94: D1ED004A 00FE592D
	v_perm_b32 v75, v45, v44, s64                              // 000000005D9C: D1ED004B 0102592D
	v_perm_b32 v76, v47, v46, s63                              // 000000005DA4: D1ED004C 00FE5D2F
	v_mov_b32_dpp v131, v128 quad_perm:[3,3,3,3] row_mask:0xf bank_mask:0xf// 000000005DAC: 7F0602FA FF00FF80
	v_mov_b32_dpp v130, v128 quad_perm:[2,2,2,2] row_mask:0xf bank_mask:0xf// 000000005DB4: 7F0402FA FF00AA80
	v_mfma_f32_16x16x16_f16 v[136:139], v[58:59], a[32:33], v[136:139]// 000000005DBC: D3CD0088 1622413A
	ds_read_b128 v[80:83], v10 offset:13056                    // 000000005DC4: D9FE3300 5000000A
	ds_read_b128 v[84:87], v10 offset:13568                    // 000000005DCC: D9FE3500 5400000A
	ds_read_b128 v[88:91], v10 offset:15232                    // 000000005DD4: D9FE3B80 5800000A
	buffer_load_dword v50, v208, s[20:23], 0 idxen             // 000000005DDC: E0502000 800532D0
	buffer_load_dword v51, v209, s[20:23], 0 idxen             // 000000005DE4: E0502000 800533D1
	v_mfma_f32_16x16x16_f16 v[136:139], v[60:61], a[38:39], v[136:139]// 000000005DEC: D3CD0088 16224D3C
	v_perm_b32 v77, v47, v46, s64                              // 000000005DF4: D1ED004D 01025D2F
	v_perm_b32 v78, v49, v48, s63                              // 000000005DFC: D1ED004E 00FE6131
	v_perm_b32 v79, v49, v48, s64                              // 000000005E04: D1ED004F 01026131
	v_mov_b32_dpp v129, v128 quad_perm:[1,1,1,1] row_mask:0xf bank_mask:0xf// 000000005E0C: 7F0202FA FF005580
	v_mov_b32_dpp v128, v128 quad_perm:[0,0,0,0] row_mask:0xf bank_mask:0xf// 000000005E14: 7F0002FA FF000080
	v_mfma_f32_16x16x16_f16 v[136:139], v[62:63], a[44:45], v[136:139]// 000000005E1C: D3CD0088 1622593E
	ds_read_b128 v[92:95], v10 offset:15744                    // 000000005E24: D9FE3D80 5C00000A
	ds_read_b128 v[96:99], v10 offset:17408                    // 000000005E2C: D9FE4400 6000000A
	ds_read_b128 v[100:103], v10 offset:17920                  // 000000005E34: D9FE4600 6400000A
	buffer_load_dword v52, v208, s[20:23], 0 idxen offset:128  // 000000005E3C: E0502080 800534D0
	buffer_load_dword v53, v209, s[20:23], 0 idxen offset:128  // 000000005E44: E0502080 800535D1
	v_mfma_f32_16x16x16_f16 v[140:143], v[56:57], a[28:29], 0  // 000000005E4C: D3CD008C 12023938
	s_add_u32 s60, 64, s59                                     // 000000005E54: 803C3BC0
	s_cmp_lt_u32 s60, s58                                      // 000000005E58: BF0A3A3C
	s_cselect_b32 s68, s68, 0                                  // 000000005E5C: 85448044
	s_cselect_b32 s100, s100, 0                                // 000000005E60: 85648064
	s_cselect_b32 s69, s69, 0                                  // 000000005E64: 85458045
	v_mfma_f32_16x16x16_f16 v[140:143], v[58:59], a[34:35], v[140:143]// 000000005E68: D3CD008C 1632453A
	buffer_load_dword v9, s[24:27], 0 idxen lds                // 000000005E70: E0512000 80060009
	v_mov_b32_e32 v42, 0                                       // 000000005E78: 7E540280
	s_mov_b64 exec, s[80:81]                                   // 000000005E7C: BEFE0150
	buffer_load_dword v42, v1, s[8:11], 0 idxen offset:256     // 000000005E80: E0502100 80022A01
	s_mov_b32 exec_lo, -1                                      // 000000005E88: BEFE00C1
	s_mov_b32 exec_hi, -1                                      // 000000005E8C: BEFF00C1
	v_mov_b32_e32 v43, 0                                       // 000000005E90: 7E560280
	s_mov_b64 exec, s[80:81]                                   // 000000005E94: BEFE0150
	buffer_load_dword v43, v2, s[8:11], 0 idxen offset:256     // 000000005E98: E0502100 80022B02
	s_mov_b32 exec_lo, -1                                      // 000000005EA0: BEFE00C1
	s_mov_b32 exec_hi, -1                                      // 000000005EA4: BEFF00C1
	v_mfma_f32_16x16x16_f16 v[140:143], v[60:61], a[40:41], v[140:143]// 000000005EA8: D3CD008C 1632513C
	v_mov_b32_e32 v54, 0                                       // 000000005EB0: 7E6C0280
	s_mov_b64 exec, s[80:81]                                   // 000000005EB4: BEFE0150
	buffer_load_dword v54, v208, s[20:23], 0 idxen offset:256  // 000000005EB8: E0502100 800536D0
	s_mov_b32 exec_lo, -1                                      // 000000005EC0: BEFE00C1
	s_mov_b32 exec_hi, -1                                      // 000000005EC4: BEFF00C1
	v_mov_b32_e32 v55, 0                                       // 000000005EC8: 7E6E0280
	s_mov_b64 exec, s[80:81]                                   // 000000005ECC: BEFE0150
	buffer_load_dword v55, v209, s[20:23], 0 idxen offset:256  // 000000005ED0: E0502100 800537D1
	s_mov_b32 exec_lo, -1                                      // 000000005ED8: BEFE00C1
	s_mov_b32 exec_hi, -1                                      // 000000005EDC: BEFF00C1
	v_add_u32_e32 v1, s68, v1                                  // 000000005EE0: 68020244
	v_add_u32_e32 v2, s68, v2                                  // 000000005EE4: 68040444
	v_add_u32_e32 v208, s100, v208                             // 000000005EE8: 69A1A064
	v_add_u32_e32 v209, s100, v209                             // 000000005EEC: 69A3A264
	s_mov_b32 m0, s78                                          // 000000005EF0: BEFC004E
	v_add_u32_e32 v9, s69, v9                                  // 000000005EF4: 68121245
	v_mfma_f32_16x16x16_f16 v[140:143], v[62:63], a[46:47], v[140:143]// 000000005EF8: D3CD008C 16325D3E
	s_cmp_ge_u32 s59, s73                                      // 000000005F00: BF09493B
	s_cselect_b32 s66, s67, s66                                // 000000005F04: 85424243
	s_addk_i32 s59, 0x10                                       // 000000005F08: B73B0010
	s_nop 0                                                    // 000000005F0C: BF800000
	s_cmp_lt_i32 s59, s58                                      // 000000005F10: BF043A3B
	s_cbranch_scc0 label_0A42                                  // 000000005F14: BF8401FC
	s_waitcnt lgkmcnt(0)                                       // 000000005F18: BF8CC07F
	s_barrier                                                  // 000000005F1C: BF8A0000
	v_mfma_f32_16x16x16_f16 v[56:59], a[72:73], a[0:1], 0      // 000000005F20: D3CD0038 1A020148
	ds_write_b32 v11, v44 offset:13056                         // 000000005F28: D81A3300 00002C0B
	ds_write_b32 v11, v45 offset:14112                         // 000000005F30: D81A3720 00002D0B
	ds_write_b32 v11, v46 offset:15232                         // 000000005F38: D81A3B80 00002E0B
	v_mfma_f32_16x16x16_f16 v[56:59], a[74:75], a[2:3], v[56:59]// 000000005F40: D3CD0038 1CE2054A
	v_mul_f32_e32 v132, s47, v132                              // 000000005F48: 0B09082F
	v_mul_f32_e32 v133, s47, v133                              // 000000005F4C: 0B0B0A2F
	v_mul_f32_e32 v134, s47, v134                              // 000000005F50: 0B0D0C2F
	v_mul_f32_e32 v135, s47, v135                              // 000000005F54: 0B0F0E2F
	v_mfma_f32_16x16x16_f16 v[56:59], a[76:77], a[4:5], v[56:59]// 000000005F58: D3CD0038 1CE2094C
	ds_write_b32 v11, v47 offset:16288                         // 000000005F60: D81A3FA0 00002F0B
	ds_write_b32 v11, v48 offset:17408                         // 000000005F68: D81A4400 0000300B
	ds_write_b32 v11, v49 offset:18464                         // 000000005F70: D81A4820 0000310B
	v_mfma_f32_16x16x16_f16 v[56:59], a[78:79], a[6:7], v[56:59]// 000000005F78: D3CD0038 1CE20D4E
	v_mul_f32_e32 v136, s47, v136                              // 000000005F80: 0B11102F
	v_mul_f32_e32 v137, s47, v137                              // 000000005F84: 0B13122F
	v_mul_f32_e32 v138, s47, v138                              // 000000005F88: 0B15142F
	v_mul_f32_e32 v139, s47, v139                              // 000000005F8C: 0B17162F
	v_mfma_f32_16x16x16_f16 v[56:59], a[80:81], a[8:9], v[56:59]// 000000005F90: D3CD0038 1CE21150
	ds_write_b64 v20, v[132:133] offset:28416                  // 000000005F98: D89A6F00 00008414
	ds_write_b64 v20, v[134:135] offset:28928                  // 000000005FA0: D89A7100 00008614
	v_mfma_f32_16x16x16_f16 v[56:59], a[82:83], a[10:11], v[56:59]// 000000005FA8: D3CD0038 1CE21552
	v_mul_f32_e32 v140, s47, v140                              // 000000005FB0: 0B19182F
	v_mul_f32_e32 v141, s47, v141                              // 000000005FB4: 0B1B1A2F
	v_mul_f32_e32 v142, s47, v142                              // 000000005FB8: 0B1D1C2F
	v_mul_f32_e32 v143, s47, v143                              // 000000005FBC: 0B1F1E2F
	v_mfma_f32_16x16x16_f16 v[56:59], a[84:85], a[12:13], v[56:59]// 000000005FC0: D3CD0038 1CE21954
	ds_write_b64 v20, v[136:137] offset:29440                  // 000000005FC8: D89A7300 00008814
	ds_write_b64 v20, v[138:139] offset:29952                  // 000000005FD0: D89A7500 00008A14
	v_mfma_f32_16x16x16_f16 v[56:59], a[86:87], a[14:15], v[56:59]// 000000005FD8: D3CD0038 1CE21D56
	ds_write_b64 v20, v[140:141] offset:30464                  // 000000005FE0: D89A7700 00008C14
	ds_write_b64 v20, v[142:143] offset:30976                  // 000000005FE8: D89A7900 00008E14
	v_mfma_f32_16x16x16_f16 v[56:59], a[88:89], a[16:17], v[56:59]// 000000005FF0: D3CD0038 1CE22158
	ds_read_b128 v[104:107], v12 offset:19584                  // 000000005FF8: D9FE4C80 6800000C
	v_mfma_f32_16x16x16_f16 v[56:59], a[90:91], a[18:19], v[56:59]// 000000006000: D3CD0038 1CE2255A
	ds_read_b128 v[108:111], v12 offset:20096                  // 000000006008: D9FE4E80 6C00000C
	v_mfma_f32_16x16x16_f16 v[56:59], a[92:93], a[20:21], v[56:59]// 000000006010: D3CD0038 1CE2295C
	ds_read_b128 v[112:115], v12 offset:21760                  // 000000006018: D9FE5500 7000000C
	ds_read_b128 v[116:119], v12 offset:22272                  // 000000006020: D9FE5700 7400000C
	v_mfma_f32_16x16x16_f16 v[56:59], a[94:95], a[22:23], v[56:59]// 000000006028: D3CD0038 1CE22D5E
	ds_read_b128 v[120:123], v12 offset:23936                  // 000000006030: D9FE5D80 7800000C
	ds_read_b128 v[124:127], v12 offset:24448                  // 000000006038: D9FE5F80 7C00000C
	s_cmp_lt_i32 s74, 4                                        // 000000006040: BF04844A
	s_cbranch_scc0 label_08BC                                  // 000000006044: BF84002A
	s_mov_b32 s60, 0xffe0fffe                                  // 000000006048: BEBC00FF FFE0FFFE
	s_mov_b32 s61, 0xe000fe00                                  // 000000006050: BEBD00FF E000FE00
	s_nop 0                                                    // 000000006058: BF800000
	s_cmp_lt_i32 s74, s46                                      // 00000000605C: BF042E4A
	s_cbranch_scc1 label_08B7                                  // 000000006060: BF85001E
	s_cmp_eq_i32 s74, s46                                      // 000000006064: BF002E4A
	s_cbranch_scc1 label_089C                                  // 000000006068: BF850001
	s_branch label_08BC                                        // 00000000606C: BF820020

0000000000006070 <label_089C>:
	v_cndmask_b32_e64 v56, v56, v159, s[60:61]                 // 000000006070: D1000038 00F33F38
	s_lshl_b32 s60, s60, 1                                     // 000000006078: 8E3C813C
	s_lshl_b32 s61, s61, 1                                     // 00000000607C: 8E3D813D
	s_and_b32 s60, 0xfffeffff, s60                             // 000000006080: 863C3CFF FFFEFFFF
	s_and_b32 s61, 0xfffeffff, s61                             // 000000006088: 863D3DFF FFFEFFFF
	v_cndmask_b32_e64 v57, v57, v159, s[60:61]                 // 000000006090: D1000039 00F33F39
	s_lshl_b32 s60, s60, 1                                     // 000000006098: 8E3C813C
	s_lshl_b32 s61, s61, 1                                     // 00000000609C: 8E3D813D
	s_and_b32 s60, 0xfffeffff, s60                             // 0000000060A0: 863C3CFF FFFEFFFF
	s_and_b32 s61, 0xfffeffff, s61                             // 0000000060A8: 863D3DFF FFFEFFFF
	v_cndmask_b32_e64 v58, v58, v159, s[60:61]                 // 0000000060B0: D100003A 00F33F3A
	s_lshl_b32 s60, s60, 1                                     // 0000000060B8: 8E3C813C
	s_lshl_b32 s61, s61, 1                                     // 0000000060BC: 8E3D813D
	s_and_b32 s60, 0xfffeffff, s60                             // 0000000060C0: 863C3CFF FFFEFFFF
	s_and_b32 s61, 0xfffeffff, s61                             // 0000000060C8: 863D3DFF FFFEFFFF
	v_cndmask_b32_e64 v59, v59, v159, s[60:61]                 // 0000000060D0: D100003B 00F33F3B
	s_branch label_08BC                                        // 0000000060D8: BF820005

00000000000060dc <label_08B7>:
	v_mov_b32_e32 v56, v159                                    // 0000000060DC: 7E70039F
	v_mov_b32_e32 v57, v159                                    // 0000000060E0: 7E72039F
	v_mov_b32_e32 v58, v159                                    // 0000000060E4: 7E74039F
	v_mov_b32_e32 v59, v159                                    // 0000000060E8: 7E76039F
	s_branch label_08BC                                        // 0000000060EC: BF820000

00000000000060f0 <label_08BC>:
	s_cmp_lt_i32 s84, 64                                       // 0000000060F0: BF04C054
	s_cbranch_scc0 label_08CD                                  // 0000000060F4: BF84000F
	v_and_b32_e32 v28, 15, v0                                  // 0000000060F8: 2638008F
	v_mul_i32_i24_e64 v29, s46, 16                             // 0000000060FC: D106001D 0001202E
	v_add_u32_e32 v28, v28, v29                                // 000000006104: 68383B1C
	v_cmp_lt_u32_e64 s[60:61], v28, s84                        // 000000006108: D0C9003C 0000A91C
	s_nop 1                                                    // 000000006110: BF800001
	v_cndmask_b32_e64 v56, v159, v56, s[60:61]                 // 000000006114: D1000038 00F2719F
	v_cndmask_b32_e64 v57, v159, v57, s[60:61]                 // 00000000611C: D1000039 00F2739F
	v_cndmask_b32_e64 v58, v159, v58, s[60:61]                 // 000000006124: D100003A 00F2759F
	v_cndmask_b32_e64 v59, v159, v59, s[60:61]                 // 00000000612C: D100003B 00F2779F

0000000000006134 <label_08CD>:
	s_addk_i32 s74, 0x1                                        // 000000006134: B74A0001
	s_waitcnt lgkmcnt(6)                                       // 000000006138: BF8CC67F
	s_barrier                                                  // 00000000613C: BF8A0000
	v_mfma_f32_16x16x16_f16 v[64:67], v[80:81], a[48:49], 0    // 000000006140: D3CD0040 12026150
	ds_read_b128 a[72:75], v12 offset:6528                     // 000000006148: DBFE1980 4800000C
	ds_read_b128 a[76:79], v12 offset:7040                     // 000000006150: DBFE1B80 4C00000C
	ds_write_b32 v11, v32                                      // 000000006158: D81A0000 0000200B
	ds_write_b32 v11, v33 offset:1056                          // 000000006160: D81A0420 0000210B
	v_mfma_f32_16x16x16_f16 v[64:67], v[82:83], a[50:51], v[64:67]// 000000006168: D3CD0040 15026552
	v_fma_f32 v56, v56, s57, -v128                             // 000000006170: D1CB0038 86007338
	v_fma_f32 v57, v57, s57, -v129                             // 000000006178: D1CB0039 86047339
	v_fma_f32 v58, v58, s57, -v130                             // 000000006180: D1CB003A 8608733A
	v_fma_f32 v59, v59, s57, -v131                             // 000000006188: D1CB003B 860C733B
	v_mfma_f32_16x16x16_f16 v[64:67], v[84:85], a[52:53], v[64:67]// 000000006190: D3CD0040 15026954
	ds_read_b128 a[80:83], v12 offset:8704                     // 000000006198: DBFE2200 5000000C
	ds_read_b128 a[84:87], v12 offset:9216                     // 0000000061A0: DBFE2400 5400000C
	ds_write_b32 v11, v34 offset:2176                          // 0000000061A8: D81A0880 0000220B
	v_mfma_f32_16x16x16_f16 v[64:67], v[86:87], a[54:55], v[64:67]// 0000000061B0: D3CD0040 15026D56
	v_exp_f32_e32 v56, v56                                     // 0000000061B8: 7E704138
	v_mfma_f32_16x16x16_f16 v[64:67], v[88:89], a[56:57], v[64:67]// 0000000061BC: D3CD0040 15027158
	ds_read_b128 a[88:91], v12 offset:10880                    // 0000000061C4: DBFE2A80 5800000C
	ds_read_b128 a[92:95], v12 offset:11392                    // 0000000061CC: DBFE2C80 5C00000C
	ds_write_b32 v11, v35 offset:3232                          // 0000000061D4: D81A0CA0 0000230B
	v_mfma_f32_16x16x16_f16 v[64:67], v[90:91], a[58:59], v[64:67]// 0000000061DC: D3CD0040 1502755A
	v_exp_f32_e32 v57, v57                                     // 0000000061E4: 7E724139
	v_mfma_f32_16x16x16_f16 v[64:67], v[92:93], a[60:61], v[64:67]// 0000000061E8: D3CD0040 1502795C
	ds_read_b64 v[144:145], v19 offset:28416                   // 0000000061F0: D8EC6F00 90000013
	ds_read_b64 v[146:147], v19 offset:30464                   // 0000000061F8: D8EC7700 92000013
	ds_read_b64 v[148:149], v19 offset:32512                   // 000000006200: D8EC7F00 94000013
	ds_write_b32 v11, v36 offset:4352                          // 000000006208: D81A1100 0000240B
	v_mfma_f32_16x16x16_f16 v[64:67], v[94:95], a[62:63], v[64:67]// 000000006210: D3CD0040 15027D5E
	v_exp_f32_e32 v58, v58                                     // 000000006218: 7E74413A
	v_mfma_f32_16x16x16_f16 v[64:67], v[96:97], a[64:65], v[64:67]// 00000000621C: D3CD0040 15028160
	ds_read_b64 v[150:151], v19 offset:34560                   // 000000006224: D8EC8700 96000013
	ds_read_b64 v[152:153], v19 offset:36608                   // 00000000622C: D8EC8F00 98000013
	ds_read_b64 v[154:155], v19 offset:38656                   // 000000006234: D8EC9700 9A000013
	ds_write_b32 v11, v37 offset:5408                          // 00000000623C: D81A1520 0000250B
	v_mfma_f32_16x16x16_f16 v[64:67], v[98:99], a[66:67], v[64:67]// 000000006244: D3CD0040 15028562
	v_exp_f32_e32 v59, v59                                     // 00000000624C: 7E76413B
	v_mfma_f32_16x16x16_f16 v[64:67], v[100:101], a[68:69], v[64:67]// 000000006250: D3CD0040 15028964
	v_cvt_pkrtz_f16_f32 v156, v56, v57                         // 000000006258: D296009C 00027338
	v_mfma_f32_16x16x16_f16 v[64:67], v[102:103], a[70:71], v[64:67]// 000000006260: D3CD0040 15028D66
	v_cvt_pkrtz_f16_f32 v157, v58, v59                         // 000000006268: D296009D 0002773A
	v_add_u32_e32 v7, s66, v7                                  // 000000006270: 680E0E42
	v_add_u32_e32 v8, s66, v8                                  // 000000006274: 68101042
	s_waitcnt lgkmcnt(0)                                       // 000000006278: BF8CC07F
	s_barrier                                                  // 00000000627C: BF8A0000
	v_mfma_f32_16x16x16_f16 v[160:163], v[104:105], v[156:157], v[160:163]// 000000006280: D3CD00A0 06833968
	v_subrev_f32_dpp v64, v158, v64 quad_perm:[0,0,0,0] row_mask:0xf bank_mask:0xf// 000000006288: 068080FA FF00009E
	v_subrev_f32_dpp v65, v158, v65 quad_perm:[1,1,1,1] row_mask:0xf bank_mask:0xf// 000000006290: 068282FA FF00559E
	buffer_atomic_add_f32 v144, v7, s[32:35], 0 offen          // 000000006298: E1341000 80089007
	v_mfma_f32_16x16x16_f16 v[164:167], v[106:107], v[156:157], v[164:167]// 0000000062A0: D3CD00A4 0693396A
	v_subrev_f32_dpp v66, v158, v66 quad_perm:[2,2,2,2] row_mask:0xf bank_mask:0xf// 0000000062A8: 068484FA FF00AA9E
	v_subrev_f32_dpp v67, v158, v67 quad_perm:[3,3,3,3] row_mask:0xf bank_mask:0xf// 0000000062B0: 068686FA FF00FF9E
	buffer_atomic_add_f32 v145, v8, s[32:35], 0 offen          // 0000000062B8: E1341000 80089108
	v_mfma_f32_16x16x16_f16 v[168:171], v[108:109], v[156:157], v[168:171]// 0000000062C0: D3CD00A8 06A3396C
	v_mul_f32_e32 v64, v56, v64                                // 0000000062C8: 0A808138
	v_mul_f32_e32 v65, v57, v65                                // 0000000062CC: 0A828339
	buffer_atomic_add_f32 v146, v7, s[32:35], 0 offen offset:128// 0000000062D0: E1341080 80089207
	v_mfma_f32_16x16x16_f16 v[172:175], v[110:111], v[156:157], v[172:175]// 0000000062D8: D3CD00AC 06B3396E
	v_mul_f32_e32 v66, v58, v66                                // 0000000062E0: 0A84853A
	v_mul_f32_e32 v67, v59, v67                                // 0000000062E4: 0A86873B
	buffer_atomic_add_f32 v147, v8, s[32:35], 0 offen offset:128// 0000000062E8: E1341080 80089308
	v_mfma_f32_16x16x16_f16 v[176:179], v[112:113], v[156:157], v[176:179]// 0000000062F0: D3CD00B0 06C33970
	v_cvt_pkrtz_f16_f32 v64, v64, v65                          // 0000000062F8: D2960040 00028340
	v_mfma_f32_16x16x16_f16 v[180:183], v[114:115], v[156:157], v[180:183]// 000000006300: D3CD00B4 06D33972
	v_cvt_pkrtz_f16_f32 v65, v66, v67                          // 000000006308: D2960041 00028742
	v_mfma_f32_16x16x16_f16 v[184:187], v[116:117], v[156:157], v[184:187]// 000000006310: D3CD00B8 06E33974
	v_mov_b32_dpp v16, v64 quad_perm:[1,0,3,2] row_mask:0xf bank_mask:0xf// 000000006318: 7E2002FA FF00B140
	v_perm_b32 v56, v16, v64, v15                              // 000000006320: D1ED0038 043E8110
	buffer_atomic_add_f32 v148, v7, s[32:35], 0 offen offset:256// 000000006328: E1341100 80089407
	v_mfma_f32_16x16x16_f16 v[188:191], v[118:119], v[156:157], v[188:191]// 000000006330: D3CD00BC 06F33976
	v_mov_b32_dpp v16, v65 quad_perm:[1,0,3,2] row_mask:0xf bank_mask:0xf// 000000006338: 7E2002FA FF00B141
	v_perm_b32 v57, v16, v65, v15                              // 000000006340: D1ED0039 043E8310
	buffer_atomic_add_f32 v149, v8, s[32:35], 0 offen offset:256// 000000006348: E1341100 80089508
	v_mfma_f32_16x16x16_f16 v[192:195], v[120:121], v[156:157], v[192:195]// 000000006350: D3CD00C0 07033978
	ds_write_b32 v13, v68 offset:6528                          // 000000006358: D81A1980 0000440D
	ds_write_b32 v13, v69 offset:7584                          // 000000006360: D81A1DA0 0000450D
	v_mfma_f32_16x16x16_f16 v[196:199], v[122:123], v[156:157], v[196:199]// 000000006368: D3CD00C4 0713397A
	ds_write_b32 v18, v56 offset:26112                         // 000000006370: D81A6600 00003812
	ds_write_b32 v18, v57 offset:26656                         // 000000006378: D81A6820 00003912
	v_mfma_f32_16x16x16_f16 v[200:203], v[124:125], v[156:157], v[200:203]// 000000006380: D3CD00C8 0723397C
	ds_write_b32 v13, v70 offset:8704                          // 000000006388: D81A2200 0000460D
	ds_write_b32 v13, v71 offset:9760                          // 000000006390: D81A2620 0000470D
	v_mfma_f32_16x16x16_f16 v[204:207], v[126:127], v[156:157], v[204:207]// 000000006398: D3CD00CC 0733397E
	ds_write_b32 v13, v72 offset:10880                         // 0000000063A0: D81A2A80 0000480D
	ds_write_b32 v13, v73 offset:11936                         // 0000000063A8: D81A2EA0 0000490D
	s_barrier                                                  // 0000000063B0: BF8A0000
	v_mfma_f32_16x16x16_f16 a[96:99], a[72:73], v[64:65], a[96:99]// 0000000063B4: D3CD8060 0D828148
	buffer_atomic_add_f32 v150, v7, s[32:35], 0 offen offset:384// 0000000063BC: E1341180 80089607
	buffer_atomic_add_f32 v151, v8, s[32:35], 0 offen offset:384// 0000000063C4: E1341180 80089708
	v_mfma_f32_16x16x16_f16 a[100:103], a[74:75], v[64:65], a[100:103]// 0000000063CC: D3CD8064 0D92814A
	ds_read_b32 v128, v21 offset:40704                         // 0000000063D4: D86C9F00 80000015
	ds_read_b32 v158, v21 offset:40960                         // 0000000063DC: D86CA000 9E000015
	v_mfma_f32_16x16x16_f16 a[104:107], a[76:77], v[64:65], a[104:107]// 0000000063E4: D3CD8068 0DA2814C
	s_waitcnt lgkmcnt(6)                                       // 0000000063EC: BF8CC67F
	s_barrier                                                  // 0000000063F0: BF8A0000
	v_mfma_f32_16x16x16_f16 a[108:111], a[78:79], v[64:65], a[108:111]// 0000000063F4: D3CD806C 0DB2814E
	ds_read_b128 v[56:59], v17 offset:26112                    // 0000000063FC: D9FE6600 38000011
	v_mfma_f32_16x16x16_f16 a[112:115], a[80:81], v[64:65], a[112:115]// 000000006404: D3CD8070 0DC28150
	s_mov_b64 exec, s[82:83]                                   // 00000000640C: BEFE0152
	buffer_atomic_add_f32 v152, v7, s[32:35], 0 offen offset:512// 000000006410: E1341200 80089807
	s_mov_b32 exec_lo, -1                                      // 000000006418: BEFE00C1
	s_mov_b32 exec_hi, -1                                      // 00000000641C: BEFF00C1
	v_mfma_f32_16x16x16_f16 a[116:119], a[82:83], v[64:65], a[116:119]// 000000006420: D3CD8074 0DD28152
	ds_read_b128 v[60:63], v17 offset:27264                    // 000000006428: D9FE6A80 3C000011
	v_mfma_f32_16x16x16_f16 a[120:123], a[84:85], v[64:65], a[120:123]// 000000006430: D3CD8078 0DE28154
	s_mov_b64 exec, s[82:83]                                   // 000000006438: BEFE0152
	buffer_atomic_add_f32 v153, v8, s[32:35], 0 offen offset:512// 00000000643C: E1341200 80089908
	s_mov_b32 exec_lo, -1                                      // 000000006444: BEFE00C1
	s_mov_b32 exec_hi, -1                                      // 000000006448: BEFF00C1
	v_mfma_f32_16x16x16_f16 a[124:127], a[86:87], v[64:65], a[124:127]// 00000000644C: D3CD807C 0DF28156
	ds_write_b32 v13, v74 offset:19584                         // 000000006454: D81A4C80 00004A0D
	ds_write_b32 v13, v75 offset:20640                         // 00000000645C: D81A50A0 00004B0D
	v_mfma_f32_16x16x16_f16 a[128:131], a[88:89], v[64:65], a[128:131]// 000000006464: D3CD8080 0E028158
	s_mov_b64 exec, s[92:93]                                   // 00000000646C: BEFE015C
	buffer_atomic_add_f32 v154, v7, s[32:35], 0 offen offset:640// 000000006470: E1341280 80089A07
	s_mov_b32 exec_lo, -1                                      // 000000006478: BEFE00C1
	s_mov_b32 exec_hi, -1                                      // 00000000647C: BEFF00C1
	v_mfma_f32_16x16x16_f16 a[132:135], a[90:91], v[64:65], a[132:135]// 000000006480: D3CD8084 0E12815A
	ds_write_b32 v13, v76 offset:21760                         // 000000006488: D81A5500 00004C0D
	ds_write_b32 v13, v77 offset:22816                         // 000000006490: D81A5920 00004D0D
	v_mfma_f32_16x16x16_f16 a[136:139], a[92:93], v[64:65], a[136:139]// 000000006498: D3CD8088 0E22815C
	s_mov_b64 exec, s[92:93]                                   // 0000000064A0: BEFE015C
	buffer_atomic_add_f32 v155, v8, s[32:35], 0 offen offset:640// 0000000064A4: E1341280 80089B08
	s_mov_b32 exec_lo, -1                                      // 0000000064AC: BEFE00C1
	s_mov_b32 exec_hi, -1                                      // 0000000064B0: BEFF00C1
	v_mfma_f32_16x16x16_f16 a[140:143], a[94:95], v[64:65], a[140:143]// 0000000064B4: D3CD808C 0E32815E
	ds_write_b32 v13, v78 offset:23936                         // 0000000064BC: D81A5D80 00004E0D
	ds_write_b32 v13, v79 offset:24992                         // 0000000064C4: D81A61A0 00004F0D
	s_waitcnt vmcnt(12) lgkmcnt(6)                             // 0000000064CC: BF8C067C
	s_barrier                                                  // 0000000064D0: BF8A0000
	v_mfma_f32_16x16x16_f16 v[132:135], v[56:57], a[24:25], 0  // 0000000064D4: D3CD0084 12023138
	v_mul_f32_e32 v128, s48, v128                              // 0000000064DC: 0B010030
	v_perm_b32 v68, v39, v38, s63                              // 0000000064E0: D1ED0044 00FE4D27
	v_perm_b32 v69, v39, v38, s64                              // 0000000064E8: D1ED0045 01024D27
	v_perm_b32 v70, v41, v40, s63                              // 0000000064F0: D1ED0046 00FE5129
	v_mfma_f32_16x16x16_f16 v[132:135], v[58:59], a[30:31], v[132:135]// 0000000064F8: D3CD0084 16123D3A
	ds_read_b128 a[72:75], v10                                 // 000000006500: DBFE0000 4800000A
	ds_read_b128 a[76:79], v10 offset:512                      // 000000006508: DBFE0200 4C00000A
	ds_read_b128 a[80:83], v10 offset:2176                     // 000000006510: DBFE0880 5000000A
	buffer_load_dword v32, v1, s[8:11], 0 idxen                // 000000006518: E0502000 80022001
	buffer_load_dword v33, v2, s[8:11], 0 idxen                // 000000006520: E0502000 80022102
	v_mfma_f32_16x16x16_f16 v[132:135], v[60:61], a[36:37], v[132:135]// 000000006528: D3CD0084 1612493C
	v_perm_b32 v71, v41, v40, s64                              // 000000006530: D1ED0047 01025129
	v_perm_b32 v72, v43, v42, s63                              // 000000006538: D1ED0048 00FE552B
	v_perm_b32 v73, v43, v42, s64                              // 000000006540: D1ED0049 0102552B
	v_mfma_f32_16x16x16_f16 v[132:135], v[62:63], a[42:43], v[132:135]// 000000006548: D3CD0084 1612553E
	ds_read_b128 a[84:87], v10 offset:2688                     // 000000006550: DBFE0A80 5400000A
	ds_read_b128 a[88:91], v10 offset:4352                     // 000000006558: DBFE1100 5800000A
	ds_read_b128 a[92:95], v10 offset:4864                     // 000000006560: DBFE1300 5C00000A
	buffer_load_dword v34, v1, s[8:11], 0 idxen offset:128     // 000000006568: E0502080 80022201
	buffer_load_dword v35, v2, s[8:11], 0 idxen offset:128     // 000000006570: E0502080 80022302
	v_mfma_f32_16x16x16_f16 v[136:139], v[56:57], a[26:27], 0  // 000000006578: D3CD0088 12023538
	v_perm_b32 v74, v51, v50, s63                              // 000000006580: D1ED004A 00FE6533
	v_perm_b32 v75, v51, v50, s64                              // 000000006588: D1ED004B 01026533
	v_perm_b32 v76, v53, v52, s63                              // 000000006590: D1ED004C 00FE6935
	v_mov_b32_dpp v131, v128 quad_perm:[3,3,3,3] row_mask:0xf bank_mask:0xf// 000000006598: 7F0602FA FF00FF80
	v_mov_b32_dpp v130, v128 quad_perm:[2,2,2,2] row_mask:0xf bank_mask:0xf// 0000000065A0: 7F0402FA FF00AA80
	v_mfma_f32_16x16x16_f16 v[136:139], v[58:59], a[32:33], v[136:139]// 0000000065A8: D3CD0088 1622413A
	ds_read_b128 v[80:83], v10 offset:13056                    // 0000000065B0: D9FE3300 5000000A
	ds_read_b128 v[84:87], v10 offset:13568                    // 0000000065B8: D9FE3500 5400000A
	ds_read_b128 v[88:91], v10 offset:15232                    // 0000000065C0: D9FE3B80 5800000A
	buffer_load_dword v44, v208, s[20:23], 0 idxen             // 0000000065C8: E0502000 80052CD0
	buffer_load_dword v45, v209, s[20:23], 0 idxen             // 0000000065D0: E0502000 80052DD1
	v_mfma_f32_16x16x16_f16 v[136:139], v[60:61], a[38:39], v[136:139]// 0000000065D8: D3CD0088 16224D3C
	v_perm_b32 v77, v53, v52, s64                              // 0000000065E0: D1ED004D 01026935
	v_perm_b32 v78, v55, v54, s63                              // 0000000065E8: D1ED004E 00FE6D37
	v_perm_b32 v79, v55, v54, s64                              // 0000000065F0: D1ED004F 01026D37
	v_mov_b32_dpp v129, v128 quad_perm:[1,1,1,1] row_mask:0xf bank_mask:0xf// 0000000065F8: 7F0202FA FF005580
	v_mov_b32_dpp v128, v128 quad_perm:[0,0,0,0] row_mask:0xf bank_mask:0xf// 000000006600: 7F0002FA FF000080
	v_mfma_f32_16x16x16_f16 v[136:139], v[62:63], a[44:45], v[136:139]// 000000006608: D3CD0088 1622593E
	ds_read_b128 v[92:95], v10 offset:15744                    // 000000006610: D9FE3D80 5C00000A
	ds_read_b128 v[96:99], v10 offset:17408                    // 000000006618: D9FE4400 6000000A
	ds_read_b128 v[100:103], v10 offset:17920                  // 000000006620: D9FE4600 6400000A
	buffer_load_dword v46, v208, s[20:23], 0 idxen offset:128  // 000000006628: E0502080 80052ED0
	buffer_load_dword v47, v209, s[20:23], 0 idxen offset:128  // 000000006630: E0502080 80052FD1
	v_mfma_f32_16x16x16_f16 v[140:143], v[56:57], a[28:29], 0  // 000000006638: D3CD008C 12023938
	s_add_u32 s60, 64, s59                                     // 000000006640: 803C3BC0
	s_cmp_lt_u32 s60, s58                                      // 000000006644: BF0A3A3C
	s_cselect_b32 s68, s68, 0                                  // 000000006648: 85448044
	s_cselect_b32 s100, s100, 0                                // 00000000664C: 85648064
	s_cselect_b32 s69, s69, 0                                  // 000000006650: 85458045
	v_mfma_f32_16x16x16_f16 v[140:143], v[58:59], a[34:35], v[140:143]// 000000006654: D3CD008C 1632453A
	buffer_load_dword v9, s[24:27], 0 idxen lds                // 00000000665C: E0512000 80060009
	v_mov_b32_e32 v36, 0                                       // 000000006664: 7E480280
	s_mov_b64 exec, s[80:81]                                   // 000000006668: BEFE0150
	buffer_load_dword v36, v1, s[8:11], 0 idxen offset:256     // 00000000666C: E0502100 80022401
	s_mov_b32 exec_lo, -1                                      // 000000006674: BEFE00C1
	s_mov_b32 exec_hi, -1                                      // 000000006678: BEFF00C1
	v_mov_b32_e32 v37, 0                                       // 00000000667C: 7E4A0280
	s_mov_b64 exec, s[80:81]                                   // 000000006680: BEFE0150
	buffer_load_dword v37, v2, s[8:11], 0 idxen offset:256     // 000000006684: E0502100 80022502
	s_mov_b32 exec_lo, -1                                      // 00000000668C: BEFE00C1
	s_mov_b32 exec_hi, -1                                      // 000000006690: BEFF00C1
	v_mfma_f32_16x16x16_f16 v[140:143], v[60:61], a[40:41], v[140:143]// 000000006694: D3CD008C 1632513C
	v_mov_b32_e32 v48, 0                                       // 00000000669C: 7E600280
	s_mov_b64 exec, s[80:81]                                   // 0000000066A0: BEFE0150
	buffer_load_dword v48, v208, s[20:23], 0 idxen offset:256  // 0000000066A4: E0502100 800530D0
	s_mov_b32 exec_lo, -1                                      // 0000000066AC: BEFE00C1
	s_mov_b32 exec_hi, -1                                      // 0000000066B0: BEFF00C1
	v_mov_b32_e32 v49, 0                                       // 0000000066B4: 7E620280
	s_mov_b64 exec, s[80:81]                                   // 0000000066B8: BEFE0150
	buffer_load_dword v49, v209, s[20:23], 0 idxen offset:256  // 0000000066BC: E0502100 800531D1
	s_mov_b32 exec_lo, -1                                      // 0000000066C4: BEFE00C1
	s_mov_b32 exec_hi, -1                                      // 0000000066C8: BEFF00C1
	v_add_u32_e32 v1, s68, v1                                  // 0000000066CC: 68020244
	v_add_u32_e32 v2, s68, v2                                  // 0000000066D0: 68040444
	v_add_u32_e32 v208, s100, v208                             // 0000000066D4: 69A1A064
	v_add_u32_e32 v209, s100, v209                             // 0000000066D8: 69A3A264
	s_mov_b32 m0, s79                                          // 0000000066DC: BEFC004F
	v_add_u32_e32 v9, s69, v9                                  // 0000000066E0: 68121245
	v_mfma_f32_16x16x16_f16 v[140:143], v[62:63], a[46:47], v[140:143]// 0000000066E4: D3CD008C 16325D3E
	s_cmp_ge_u32 s59, s73                                      // 0000000066EC: BF09493B
	s_cselect_b32 s66, s67, s66                                // 0000000066F0: 85424243
	s_addk_i32 s59, 0x10                                       // 0000000066F4: B73B0010
	s_nop 0                                                    // 0000000066F8: BF800000
	s_cmp_lt_i32 s59, s58                                      // 0000000066FC: BF043A3B
	s_cbranch_scc0 label_0A42                                  // 000000006700: BF840001
	s_branch label_064B                                        // 000000006704: BF82FC09

0000000000006708 <label_0A42>:
	s_nop 0                                                    // 000000006708: BF800000
	s_nop 0                                                    // 00000000670C: BF800000
	s_nop 0                                                    // 000000006710: BF800000
	s_nop 0                                                    // 000000006714: BF800000
	;; [unrolled: 1-line block ×3, first 2 shown]
	s_nop 0                                                    // 00000000671C: BF800000
	s_branch label_0E40                                        // 000000006720: BF8203F7

0000000000006724 <label_0A49>:
	s_waitcnt lgkmcnt(0)                                       // 000000006724: BF8CC07F
	s_barrier                                                  // 000000006728: BF8A0000
	v_mfma_f32_16x16x16_f16 v[56:59], a[72:73], a[0:1], 0      // 00000000672C: D3CD0038 1A020148
	v_mul_f32_e32 v132, s47, v132                              // 000000006734: 0B09082F
	v_mul_f32_e32 v133, s47, v133                              // 000000006738: 0B0B0A2F
	v_mul_f32_e32 v134, s47, v134                              // 00000000673C: 0B0D0C2F
	v_mul_f32_e32 v135, s47, v135                              // 000000006740: 0B0F0E2F
	v_mfma_f32_16x16x16_f16 v[56:59], a[74:75], a[2:3], v[56:59]// 000000006744: D3CD0038 1CE2054A
	ds_write_b32 v11, v50 offset:13056                         // 00000000674C: D81A3300 0000320B
	ds_write_b32 v11, v51 offset:14112                         // 000000006754: D81A3720 0000330B
	ds_write_b32 v11, v52 offset:15232                         // 00000000675C: D81A3B80 0000340B
	v_mfma_f32_16x16x16_f16 v[56:59], a[76:77], a[4:5], v[56:59]// 000000006764: D3CD0038 1CE2094C
	v_mul_f32_e32 v136, s47, v136                              // 00000000676C: 0B11102F
	v_mul_f32_e32 v137, s47, v137                              // 000000006770: 0B13122F
	v_mul_f32_e32 v138, s47, v138                              // 000000006774: 0B15142F
	v_mul_f32_e32 v139, s47, v139                              // 000000006778: 0B17162F
	v_mfma_f32_16x16x16_f16 v[56:59], a[78:79], a[6:7], v[56:59]// 00000000677C: D3CD0038 1CE20D4E
	ds_write_b32 v11, v53 offset:16288                         // 000000006784: D81A3FA0 0000350B
	ds_write_b32 v11, v54 offset:17408                         // 00000000678C: D81A4400 0000360B
	ds_write_b32 v11, v55 offset:18464                         // 000000006794: D81A4820 0000370B
	v_mfma_f32_16x16x16_f16 v[56:59], a[80:81], a[8:9], v[56:59]// 00000000679C: D3CD0038 1CE21150
	v_mul_f32_e32 v140, s47, v140                              // 0000000067A4: 0B19182F
	v_mul_f32_e32 v141, s47, v141                              // 0000000067A8: 0B1B1A2F
	v_mul_f32_e32 v142, s47, v142                              // 0000000067AC: 0B1D1C2F
	v_mul_f32_e32 v143, s47, v143                              // 0000000067B0: 0B1F1E2F
	v_mfma_f32_16x16x16_f16 v[56:59], a[82:83], a[10:11], v[56:59]// 0000000067B4: D3CD0038 1CE21552
	ds_write_b64 v20, v[132:133] offset:28416                  // 0000000067BC: D89A6F00 00008414
	ds_write_b64 v20, v[134:135] offset:28928                  // 0000000067C4: D89A7100 00008614
	v_mfma_f32_16x16x16_f16 v[56:59], a[84:85], a[12:13], v[56:59]// 0000000067CC: D3CD0038 1CE21954
	ds_write_b64 v20, v[136:137] offset:29440                  // 0000000067D4: D89A7300 00008814
	ds_write_b64 v20, v[138:139] offset:29952                  // 0000000067DC: D89A7500 00008A14
	v_mfma_f32_16x16x16_f16 v[56:59], a[86:87], a[14:15], v[56:59]// 0000000067E4: D3CD0038 1CE21D56
	ds_write_b64 v20, v[140:141] offset:30464                  // 0000000067EC: D89A7700 00008C14
	ds_write_b64 v20, v[142:143] offset:30976                  // 0000000067F4: D89A7900 00008E14
	v_mfma_f32_16x16x16_f16 v[56:59], a[88:89], a[16:17], v[56:59]// 0000000067FC: D3CD0038 1CE22158
	ds_read_b128 v[104:107], v12 offset:19584                  // 000000006804: D9FE4C80 6800000C
	v_mfma_f32_16x16x16_f16 v[56:59], a[90:91], a[18:19], v[56:59]// 00000000680C: D3CD0038 1CE2255A
	ds_read_b128 v[108:111], v12 offset:20096                  // 000000006814: D9FE4E80 6C00000C
	v_mfma_f32_16x16x16_f16 v[56:59], a[92:93], a[20:21], v[56:59]// 00000000681C: D3CD0038 1CE2295C
	ds_read_b128 v[112:115], v12 offset:21760                  // 000000006824: D9FE5500 7000000C
	ds_read_b128 v[116:119], v12 offset:22272                  // 00000000682C: D9FE5700 7400000C
	v_mfma_f32_16x16x16_f16 v[56:59], a[94:95], a[22:23], v[56:59]// 000000006834: D3CD0038 1CE22D5E
	ds_read_b128 v[120:123], v12 offset:23936                  // 00000000683C: D9FE5D80 7800000C
	ds_read_b128 v[124:127], v12 offset:24448                  // 000000006844: D9FE5F80 7C00000C
	s_cmp_lt_i32 s74, 4                                        // 00000000684C: BF04844A
	s_cbranch_scc0 label_0ABF                                  // 000000006850: BF84002A
	s_mov_b32 s60, 0xffe0fffe                                  // 000000006854: BEBC00FF FFE0FFFE
	s_mov_b32 s61, 0xe000fe00                                  // 00000000685C: BEBD00FF E000FE00
	s_nop 0                                                    // 000000006864: BF800000
	s_cmp_lt_i32 s74, s46                                      // 000000006868: BF042E4A
	s_cbranch_scc1 label_0ABA                                  // 00000000686C: BF85001E
	s_cmp_eq_i32 s74, s46                                      // 000000006870: BF002E4A
	s_cbranch_scc1 label_0A9F                                  // 000000006874: BF850001
	s_branch label_0ABF                                        // 000000006878: BF820020

000000000000687c <label_0A9F>:
	v_cndmask_b32_e64 v56, v56, v159, s[60:61]                 // 00000000687C: D1000038 00F33F38
	s_lshl_b32 s60, s60, 1                                     // 000000006884: 8E3C813C
	s_lshl_b32 s61, s61, 1                                     // 000000006888: 8E3D813D
	s_and_b32 s60, 0xfffeffff, s60                             // 00000000688C: 863C3CFF FFFEFFFF
	s_and_b32 s61, 0xfffeffff, s61                             // 000000006894: 863D3DFF FFFEFFFF
	v_cndmask_b32_e64 v57, v57, v159, s[60:61]                 // 00000000689C: D1000039 00F33F39
	s_lshl_b32 s60, s60, 1                                     // 0000000068A4: 8E3C813C
	s_lshl_b32 s61, s61, 1                                     // 0000000068A8: 8E3D813D
	s_and_b32 s60, 0xfffeffff, s60                             // 0000000068AC: 863C3CFF FFFEFFFF
	s_and_b32 s61, 0xfffeffff, s61                             // 0000000068B4: 863D3DFF FFFEFFFF
	v_cndmask_b32_e64 v58, v58, v159, s[60:61]                 // 0000000068BC: D100003A 00F33F3A
	s_lshl_b32 s60, s60, 1                                     // 0000000068C4: 8E3C813C
	s_lshl_b32 s61, s61, 1                                     // 0000000068C8: 8E3D813D
	s_and_b32 s60, 0xfffeffff, s60                             // 0000000068CC: 863C3CFF FFFEFFFF
	s_and_b32 s61, 0xfffeffff, s61                             // 0000000068D4: 863D3DFF FFFEFFFF
	v_cndmask_b32_e64 v59, v59, v159, s[60:61]                 // 0000000068DC: D100003B 00F33F3B
	s_branch label_0ABF                                        // 0000000068E4: BF820005

00000000000068e8 <label_0ABA>:
	v_mov_b32_e32 v56, v159                                    // 0000000068E8: 7E70039F
	v_mov_b32_e32 v57, v159                                    // 0000000068EC: 7E72039F
	v_mov_b32_e32 v58, v159                                    // 0000000068F0: 7E74039F
	v_mov_b32_e32 v59, v159                                    // 0000000068F4: 7E76039F
	s_branch label_0ABF                                        // 0000000068F8: BF820000

00000000000068fc <label_0ABF>:
	s_cmp_lt_i32 s84, 64                                       // 0000000068FC: BF04C054
	s_cbranch_scc0 label_0AD0                                  // 000000006900: BF84000F
	v_and_b32_e32 v28, 15, v0                                  // 000000006904: 2638008F
	v_mul_i32_i24_e64 v29, s46, 16                             // 000000006908: D106001D 0001202E
	v_add_u32_e32 v28, v28, v29                                // 000000006910: 68383B1C
	v_cmp_lt_u32_e64 s[60:61], v28, s84                        // 000000006914: D0C9003C 0000A91C
	s_nop 1                                                    // 00000000691C: BF800001
	v_cndmask_b32_e64 v56, v159, v56, s[60:61]                 // 000000006920: D1000038 00F2719F
	v_cndmask_b32_e64 v57, v159, v57, s[60:61]                 // 000000006928: D1000039 00F2739F
	v_cndmask_b32_e64 v58, v159, v58, s[60:61]                 // 000000006930: D100003A 00F2759F
	v_cndmask_b32_e64 v59, v159, v59, s[60:61]                 // 000000006938: D100003B 00F2779F

0000000000006940 <label_0AD0>:
	s_addk_i32 s74, 0x1                                        // 000000006940: B74A0001
	s_waitcnt lgkmcnt(6)                                       // 000000006944: BF8CC67F
	s_barrier                                                  // 000000006948: BF8A0000
	v_mfma_f32_16x16x16_f16 v[64:67], v[80:81], a[48:49], 0    // 00000000694C: D3CD0040 12026150
	v_fma_f32 v56, v56, s57, -v128                             // 000000006954: D1CB0038 86007338
	v_fma_f32 v57, v57, s57, -v129                             // 00000000695C: D1CB0039 86047339
	v_fma_f32 v58, v58, s57, -v130                             // 000000006964: D1CB003A 8608733A
	v_fma_f32 v59, v59, s57, -v131                             // 00000000696C: D1CB003B 860C733B
	v_mfma_f32_16x16x16_f16 v[64:67], v[82:83], a[50:51], v[64:67]// 000000006974: D3CD0040 15026552
	ds_read_b128 a[72:75], v12 offset:6528                     // 00000000697C: DBFE1980 4800000C
	ds_read_b128 a[76:79], v12 offset:7040                     // 000000006984: DBFE1B80 4C00000C
	ds_write_b32 v11, v38                                      // 00000000698C: D81A0000 0000260B
	ds_write_b32 v11, v39 offset:1056                          // 000000006994: D81A0420 0000270B
	v_mfma_f32_16x16x16_f16 v[64:67], v[84:85], a[52:53], v[64:67]// 00000000699C: D3CD0040 15026954
	v_exp_f32_e32 v56, v56                                     // 0000000069A4: 7E704138
	v_mfma_f32_16x16x16_f16 v[64:67], v[86:87], a[54:55], v[64:67]// 0000000069A8: D3CD0040 15026D56
	ds_read_b128 a[80:83], v12 offset:8704                     // 0000000069B0: DBFE2200 5000000C
	ds_read_b128 a[84:87], v12 offset:9216                     // 0000000069B8: DBFE2400 5400000C
	ds_write_b32 v11, v40 offset:2176                          // 0000000069C0: D81A0880 0000280B
	v_mfma_f32_16x16x16_f16 v[64:67], v[88:89], a[56:57], v[64:67]// 0000000069C8: D3CD0040 15027158
	v_exp_f32_e32 v57, v57                                     // 0000000069D0: 7E724139
	v_mfma_f32_16x16x16_f16 v[64:67], v[90:91], a[58:59], v[64:67]// 0000000069D4: D3CD0040 1502755A
	ds_read_b128 a[88:91], v12 offset:10880                    // 0000000069DC: DBFE2A80 5800000C
	ds_read_b128 a[92:95], v12 offset:11392                    // 0000000069E4: DBFE2C80 5C00000C
	ds_write_b32 v11, v41 offset:3232                          // 0000000069EC: D81A0CA0 0000290B
	v_mfma_f32_16x16x16_f16 v[64:67], v[92:93], a[60:61], v[64:67]// 0000000069F4: D3CD0040 1502795C
	v_exp_f32_e32 v58, v58                                     // 0000000069FC: 7E74413A
	v_mfma_f32_16x16x16_f16 v[64:67], v[94:95], a[62:63], v[64:67]// 000000006A00: D3CD0040 15027D5E
	ds_read_b64 v[144:145], v19 offset:28416                   // 000000006A08: D8EC6F00 90000013
	ds_read_b64 v[146:147], v19 offset:30464                   // 000000006A10: D8EC7700 92000013
	ds_read_b64 v[148:149], v19 offset:32512                   // 000000006A18: D8EC7F00 94000013
	ds_write_b32 v11, v42 offset:4352                          // 000000006A20: D81A1100 00002A0B
	v_mfma_f32_16x16x16_f16 v[64:67], v[96:97], a[64:65], v[64:67]// 000000006A28: D3CD0040 15028160
	v_exp_f32_e32 v59, v59                                     // 000000006A30: 7E76413B
	v_mfma_f32_16x16x16_f16 v[64:67], v[98:99], a[66:67], v[64:67]// 000000006A34: D3CD0040 15028562
	ds_read_b64 v[150:151], v19 offset:34560                   // 000000006A3C: D8EC8700 96000013
	ds_read_b64 v[152:153], v19 offset:36608                   // 000000006A44: D8EC8F00 98000013
	ds_read_b64 v[154:155], v19 offset:38656                   // 000000006A4C: D8EC9700 9A000013
	ds_write_b32 v11, v43 offset:5408                          // 000000006A54: D81A1520 00002B0B
	v_mfma_f32_16x16x16_f16 v[64:67], v[100:101], a[68:69], v[64:67]// 000000006A5C: D3CD0040 15028964
	v_cvt_pkrtz_f16_f32 v156, v56, v57                         // 000000006A64: D296009C 00027338
	v_mfma_f32_16x16x16_f16 v[64:67], v[102:103], a[70:71], v[64:67]// 000000006A6C: D3CD0040 15028D66
	v_cvt_pkrtz_f16_f32 v157, v58, v59                         // 000000006A74: D296009D 0002773A
	v_add_u32_e32 v7, s66, v7                                  // 000000006A7C: 680E0E42
	v_add_u32_e32 v8, s66, v8                                  // 000000006A80: 68101042
	s_waitcnt lgkmcnt(0)                                       // 000000006A84: BF8CC07F
	s_barrier                                                  // 000000006A88: BF8A0000
	v_mfma_f32_16x16x16_f16 v[160:163], v[104:105], v[156:157], v[160:163]// 000000006A8C: D3CD00A0 06833968
	v_subrev_f32_dpp v64, v158, v64 quad_perm:[0,0,0,0] row_mask:0xf bank_mask:0xf// 000000006A94: 068080FA FF00009E
	v_subrev_f32_dpp v65, v158, v65 quad_perm:[1,1,1,1] row_mask:0xf bank_mask:0xf// 000000006A9C: 068282FA FF00559E
	buffer_atomic_add_f32 v144, v7, s[32:35], 0 offen          // 000000006AA4: E1341000 80089007
	v_mfma_f32_16x16x16_f16 v[164:167], v[106:107], v[156:157], v[164:167]// 000000006AAC: D3CD00A4 0693396A
	v_subrev_f32_dpp v66, v158, v66 quad_perm:[2,2,2,2] row_mask:0xf bank_mask:0xf// 000000006AB4: 068484FA FF00AA9E
	v_subrev_f32_dpp v67, v158, v67 quad_perm:[3,3,3,3] row_mask:0xf bank_mask:0xf// 000000006ABC: 068686FA FF00FF9E
	buffer_atomic_add_f32 v145, v8, s[32:35], 0 offen          // 000000006AC4: E1341000 80089108
	v_mfma_f32_16x16x16_f16 v[168:171], v[108:109], v[156:157], v[168:171]// 000000006ACC: D3CD00A8 06A3396C
	v_mul_f32_e32 v64, v56, v64                                // 000000006AD4: 0A808138
	v_mul_f32_e32 v65, v57, v65                                // 000000006AD8: 0A828339
	buffer_atomic_add_f32 v146, v7, s[32:35], 0 offen offset:128// 000000006ADC: E1341080 80089207
	v_mfma_f32_16x16x16_f16 v[172:175], v[110:111], v[156:157], v[172:175]// 000000006AE4: D3CD00AC 06B3396E
	v_mul_f32_e32 v66, v58, v66                                // 000000006AEC: 0A84853A
	v_mul_f32_e32 v67, v59, v67                                // 000000006AF0: 0A86873B
	buffer_atomic_add_f32 v147, v8, s[32:35], 0 offen offset:128// 000000006AF4: E1341080 80089308
	v_mfma_f32_16x16x16_f16 v[176:179], v[112:113], v[156:157], v[176:179]// 000000006AFC: D3CD00B0 06C33970
	v_cvt_pkrtz_f16_f32 v64, v64, v65                          // 000000006B04: D2960040 00028340
	v_mfma_f32_16x16x16_f16 v[180:183], v[114:115], v[156:157], v[180:183]// 000000006B0C: D3CD00B4 06D33972
	v_cvt_pkrtz_f16_f32 v65, v66, v67                          // 000000006B14: D2960041 00028742
	v_mfma_f32_16x16x16_f16 v[184:187], v[116:117], v[156:157], v[184:187]// 000000006B1C: D3CD00B8 06E33974
	v_mov_b32_dpp v16, v64 quad_perm:[1,0,3,2] row_mask:0xf bank_mask:0xf// 000000006B24: 7E2002FA FF00B140
	v_perm_b32 v56, v16, v64, v15                              // 000000006B2C: D1ED0038 043E8110
	buffer_atomic_add_f32 v148, v7, s[32:35], 0 offen offset:256// 000000006B34: E1341100 80089407
	v_mfma_f32_16x16x16_f16 v[188:191], v[118:119], v[156:157], v[188:191]// 000000006B3C: D3CD00BC 06F33976
	v_mov_b32_dpp v16, v65 quad_perm:[1,0,3,2] row_mask:0xf bank_mask:0xf// 000000006B44: 7E2002FA FF00B141
	v_perm_b32 v57, v16, v65, v15                              // 000000006B4C: D1ED0039 043E8310
	buffer_atomic_add_f32 v149, v8, s[32:35], 0 offen offset:256// 000000006B54: E1341100 80089508
	v_mfma_f32_16x16x16_f16 v[192:195], v[120:121], v[156:157], v[192:195]// 000000006B5C: D3CD00C0 07033978
	ds_write_b32 v13, v68 offset:6528                          // 000000006B64: D81A1980 0000440D
	ds_write_b32 v13, v69 offset:7584                          // 000000006B6C: D81A1DA0 0000450D
	v_mfma_f32_16x16x16_f16 v[196:199], v[122:123], v[156:157], v[196:199]// 000000006B74: D3CD00C4 0713397A
	ds_write_b32 v18, v56 offset:26112                         // 000000006B7C: D81A6600 00003812
	ds_write_b32 v18, v57 offset:26656                         // 000000006B84: D81A6820 00003912
	v_mfma_f32_16x16x16_f16 v[200:203], v[124:125], v[156:157], v[200:203]// 000000006B8C: D3CD00C8 0723397C
	ds_write_b32 v13, v70 offset:8704                          // 000000006B94: D81A2200 0000460D
	ds_write_b32 v13, v71 offset:9760                          // 000000006B9C: D81A2620 0000470D
	v_mfma_f32_16x16x16_f16 v[204:207], v[126:127], v[156:157], v[204:207]// 000000006BA4: D3CD00CC 0733397E
	ds_write_b32 v13, v72 offset:10880                         // 000000006BAC: D81A2A80 0000480D
	ds_write_b32 v13, v73 offset:11936                         // 000000006BB4: D81A2EA0 0000490D
	s_barrier                                                  // 000000006BBC: BF8A0000
	v_mfma_f32_16x16x16_f16 a[96:99], a[72:73], v[64:65], a[96:99]// 000000006BC0: D3CD8060 0D828148
	ds_read_b32 v128, v21 offset:41216                         // 000000006BC8: D86CA100 80000015
	ds_read_b32 v158, v21 offset:41472                         // 000000006BD0: D86CA200 9E000015
	v_mfma_f32_16x16x16_f16 a[100:103], a[74:75], v[64:65], a[100:103]// 000000006BD8: D3CD8064 0D92814A
	buffer_atomic_add_f32 v150, v7, s[32:35], 0 offen offset:384// 000000006BE0: E1341180 80089607
	buffer_atomic_add_f32 v151, v8, s[32:35], 0 offen offset:384// 000000006BE8: E1341180 80089708
	v_mfma_f32_16x16x16_f16 a[104:107], a[76:77], v[64:65], a[104:107]// 000000006BF0: D3CD8068 0DA2814C
	s_waitcnt lgkmcnt(6)                                       // 000000006BF8: BF8CC67F
	s_barrier                                                  // 000000006BFC: BF8A0000
	v_mfma_f32_16x16x16_f16 a[108:111], a[78:79], v[64:65], a[108:111]// 000000006C00: D3CD806C 0DB2814E
	s_mov_b64 exec, s[82:83]                                   // 000000006C08: BEFE0152
	buffer_atomic_add_f32 v152, v7, s[32:35], 0 offen offset:512// 000000006C0C: E1341200 80089807
	s_mov_b32 exec_lo, -1                                      // 000000006C14: BEFE00C1
	s_mov_b32 exec_hi, -1                                      // 000000006C18: BEFF00C1
	v_mfma_f32_16x16x16_f16 a[112:115], a[80:81], v[64:65], a[112:115]// 000000006C1C: D3CD8070 0DC28150
	ds_read_b128 v[56:59], v17 offset:26112                    // 000000006C24: D9FE6600 38000011
	v_mfma_f32_16x16x16_f16 a[116:119], a[82:83], v[64:65], a[116:119]// 000000006C2C: D3CD8074 0DD28152
	s_mov_b64 exec, s[82:83]                                   // 000000006C34: BEFE0152
	buffer_atomic_add_f32 v153, v8, s[32:35], 0 offen offset:512// 000000006C38: E1341200 80089908
	s_mov_b32 exec_lo, -1                                      // 000000006C40: BEFE00C1
	s_mov_b32 exec_hi, -1                                      // 000000006C44: BEFF00C1
	v_mfma_f32_16x16x16_f16 a[120:123], a[84:85], v[64:65], a[120:123]// 000000006C48: D3CD8078 0DE28154
	ds_read_b128 v[60:63], v17 offset:27264                    // 000000006C50: D9FE6A80 3C000011
	v_mfma_f32_16x16x16_f16 a[124:127], a[86:87], v[64:65], a[124:127]// 000000006C58: D3CD807C 0DF28156
	s_mov_b64 exec, s[92:93]                                   // 000000006C60: BEFE015C
	buffer_atomic_add_f32 v154, v7, s[32:35], 0 offen offset:640// 000000006C64: E1341280 80089A07
	s_mov_b32 exec_lo, -1                                      // 000000006C6C: BEFE00C1
	s_mov_b32 exec_hi, -1                                      // 000000006C70: BEFF00C1
	v_mfma_f32_16x16x16_f16 a[128:131], a[88:89], v[64:65], a[128:131]// 000000006C74: D3CD8080 0E028158
	ds_write_b32 v13, v74 offset:19584                         // 000000006C7C: D81A4C80 00004A0D
	ds_write_b32 v13, v75 offset:20640                         // 000000006C84: D81A50A0 00004B0D
	v_mfma_f32_16x16x16_f16 a[132:135], a[90:91], v[64:65], a[132:135]// 000000006C8C: D3CD8084 0E12815A
	s_mov_b64 exec, s[92:93]                                   // 000000006C94: BEFE015C
	buffer_atomic_add_f32 v155, v8, s[32:35], 0 offen offset:640// 000000006C98: E1341280 80089B08
	s_mov_b32 exec_lo, -1                                      // 000000006CA0: BEFE00C1
	s_mov_b32 exec_hi, -1                                      // 000000006CA4: BEFF00C1
	v_mfma_f32_16x16x16_f16 a[136:139], a[92:93], v[64:65], a[136:139]// 000000006CA8: D3CD8088 0E22815C
	ds_write_b32 v13, v76 offset:21760                         // 000000006CB0: D81A5500 00004C0D
	ds_write_b32 v13, v77 offset:22816                         // 000000006CB8: D81A5920 00004D0D
	v_mfma_f32_16x16x16_f16 a[140:143], a[94:95], v[64:65], a[140:143]// 000000006CC0: D3CD808C 0E32815E
	ds_write_b32 v13, v78 offset:23936                         // 000000006CC8: D81A5D80 00004E0D
	ds_write_b32 v13, v79 offset:24992                         // 000000006CD0: D81A61A0 00004F0D
	s_waitcnt vmcnt(12) lgkmcnt(6)                             // 000000006CD8: BF8C067C
	s_barrier                                                  // 000000006CDC: BF8A0000
	v_mfma_f32_16x16x16_f16 v[132:135], v[56:57], a[24:25], 0  // 000000006CE0: D3CD0084 12023138
	ds_read_b128 a[72:75], v10                                 // 000000006CE8: DBFE0000 4800000A
	ds_read_b128 a[76:79], v10 offset:512                      // 000000006CF0: DBFE0200 4C00000A
	ds_read_b128 a[80:83], v10 offset:2176                     // 000000006CF8: DBFE0880 5000000A
	buffer_load_dword v38, v1, s[8:11], 0 idxen                // 000000006D00: E0502000 80022601
	buffer_load_dword v39, v2, s[8:11], 0 idxen                // 000000006D08: E0502000 80022702
	v_mfma_f32_16x16x16_f16 v[132:135], v[58:59], a[30:31], v[132:135]// 000000006D10: D3CD0084 16123D3A
	v_mul_f32_e32 v128, s48, v128                              // 000000006D18: 0B010030
	v_perm_b32 v68, v33, v32, s63                              // 000000006D1C: D1ED0044 00FE4121
	v_perm_b32 v69, v33, v32, s64                              // 000000006D24: D1ED0045 01024121
	v_perm_b32 v70, v35, v34, s63                              // 000000006D2C: D1ED0046 00FE4523
	v_mfma_f32_16x16x16_f16 v[132:135], v[60:61], a[36:37], v[132:135]// 000000006D34: D3CD0084 1612493C
	ds_read_b128 a[84:87], v10 offset:2688                     // 000000006D3C: DBFE0A80 5400000A
	ds_read_b128 a[88:91], v10 offset:4352                     // 000000006D44: DBFE1100 5800000A
	ds_read_b128 a[92:95], v10 offset:4864                     // 000000006D4C: DBFE1300 5C00000A
	buffer_load_dword v40, v1, s[8:11], 0 idxen offset:128     // 000000006D54: E0502080 80022801
	buffer_load_dword v41, v2, s[8:11], 0 idxen offset:128     // 000000006D5C: E0502080 80022902
	v_mfma_f32_16x16x16_f16 v[132:135], v[62:63], a[42:43], v[132:135]// 000000006D64: D3CD0084 1612553E
	v_perm_b32 v71, v35, v34, s64                              // 000000006D6C: D1ED0047 01024523
	v_perm_b32 v72, v37, v36, s63                              // 000000006D74: D1ED0048 00FE4925
	v_perm_b32 v73, v37, v36, s64                              // 000000006D7C: D1ED0049 01024925
	v_mfma_f32_16x16x16_f16 v[136:139], v[56:57], a[26:27], 0  // 000000006D84: D3CD0088 12023538
	ds_read_b128 v[80:83], v10 offset:13056                    // 000000006D8C: D9FE3300 5000000A
	ds_read_b128 v[84:87], v10 offset:13568                    // 000000006D94: D9FE3500 5400000A
	ds_read_b128 v[88:91], v10 offset:15232                    // 000000006D9C: D9FE3B80 5800000A
	buffer_load_dword v50, v208, s[20:23], 0 idxen             // 000000006DA4: E0502000 800532D0
	buffer_load_dword v51, v209, s[20:23], 0 idxen             // 000000006DAC: E0502000 800533D1
	v_mfma_f32_16x16x16_f16 v[136:139], v[58:59], a[32:33], v[136:139]// 000000006DB4: D3CD0088 1622413A
	v_perm_b32 v74, v45, v44, s63                              // 000000006DBC: D1ED004A 00FE592D
	v_perm_b32 v75, v45, v44, s64                              // 000000006DC4: D1ED004B 0102592D
	v_perm_b32 v76, v47, v46, s63                              // 000000006DCC: D1ED004C 00FE5D2F
	v_mov_b32_dpp v131, v128 quad_perm:[3,3,3,3] row_mask:0xf bank_mask:0xf// 000000006DD4: 7F0602FA FF00FF80
	v_mov_b32_dpp v130, v128 quad_perm:[2,2,2,2] row_mask:0xf bank_mask:0xf// 000000006DDC: 7F0402FA FF00AA80
	v_mfma_f32_16x16x16_f16 v[136:139], v[60:61], a[38:39], v[136:139]// 000000006DE4: D3CD0088 16224D3C
	ds_read_b128 v[92:95], v10 offset:15744                    // 000000006DEC: D9FE3D80 5C00000A
	ds_read_b128 v[96:99], v10 offset:17408                    // 000000006DF4: D9FE4400 6000000A
	ds_read_b128 v[100:103], v10 offset:17920                  // 000000006DFC: D9FE4600 6400000A
	buffer_load_dword v52, v208, s[20:23], 0 idxen offset:128  // 000000006E04: E0502080 800534D0
	buffer_load_dword v53, v209, s[20:23], 0 idxen offset:128  // 000000006E0C: E0502080 800535D1
	v_mfma_f32_16x16x16_f16 v[136:139], v[62:63], a[44:45], v[136:139]// 000000006E14: D3CD0088 1622593E
	v_perm_b32 v77, v47, v46, s64                              // 000000006E1C: D1ED004D 01025D2F
	v_perm_b32 v78, v49, v48, s63                              // 000000006E24: D1ED004E 00FE6131
	v_perm_b32 v79, v49, v48, s64                              // 000000006E2C: D1ED004F 01026131
	v_mov_b32_dpp v129, v128 quad_perm:[1,1,1,1] row_mask:0xf bank_mask:0xf// 000000006E34: 7F0202FA FF005580
	v_mov_b32_dpp v128, v128 quad_perm:[0,0,0,0] row_mask:0xf bank_mask:0xf// 000000006E3C: 7F0002FA FF000080
	v_mfma_f32_16x16x16_f16 v[140:143], v[56:57], a[28:29], 0  // 000000006E44: D3CD008C 12023938
	buffer_load_dword v9, s[24:27], 0 idxen lds                // 000000006E4C: E0512000 80060009
	v_mov_b32_e32 v42, 0                                       // 000000006E54: 7E540280
	s_mov_b64 exec, s[80:81]                                   // 000000006E58: BEFE0150
	buffer_load_dword v42, v1, s[8:11], 0 idxen offset:256     // 000000006E5C: E0502100 80022A01
	s_mov_b32 exec_lo, -1                                      // 000000006E64: BEFE00C1
	s_mov_b32 exec_hi, -1                                      // 000000006E68: BEFF00C1
	v_mov_b32_e32 v43, 0                                       // 000000006E6C: 7E560280
	s_mov_b64 exec, s[80:81]                                   // 000000006E70: BEFE0150
	buffer_load_dword v43, v2, s[8:11], 0 idxen offset:256     // 000000006E74: E0502100 80022B02
	s_mov_b32 exec_lo, -1                                      // 000000006E7C: BEFE00C1
	s_mov_b32 exec_hi, -1                                      // 000000006E80: BEFF00C1
	v_mfma_f32_16x16x16_f16 v[140:143], v[58:59], a[34:35], v[140:143]// 000000006E84: D3CD008C 1632453A
	s_add_u32 s60, 64, s59                                     // 000000006E8C: 803C3BC0
	s_cmp_lt_u32 s60, s58                                      // 000000006E90: BF0A3A3C
	s_cselect_b32 s68, s68, 0                                  // 000000006E94: 85448044
	s_cselect_b32 s100, s100, 0                                // 000000006E98: 85648064
	s_cselect_b32 s69, s69, 0                                  // 000000006E9C: 85458045
	v_mfma_f32_16x16x16_f16 v[140:143], v[60:61], a[40:41], v[140:143]// 000000006EA0: D3CD008C 1632513C
	v_mov_b32_e32 v54, 0                                       // 000000006EA8: 7E6C0280
	s_mov_b64 exec, s[80:81]                                   // 000000006EAC: BEFE0150
	buffer_load_dword v54, v208, s[20:23], 0 idxen offset:256  // 000000006EB0: E0502100 800536D0
	s_mov_b32 exec_lo, -1                                      // 000000006EB8: BEFE00C1
	s_mov_b32 exec_hi, -1                                      // 000000006EBC: BEFF00C1
	v_mov_b32_e32 v55, 0                                       // 000000006EC0: 7E6E0280
	s_mov_b64 exec, s[80:81]                                   // 000000006EC4: BEFE0150
	buffer_load_dword v55, v209, s[20:23], 0 idxen offset:256  // 000000006EC8: E0502100 800537D1
	s_mov_b32 exec_lo, -1                                      // 000000006ED0: BEFE00C1
	s_mov_b32 exec_hi, -1                                      // 000000006ED4: BEFF00C1
	v_add_u32_e32 v1, s68, v1                                  // 000000006ED8: 68020244
	v_add_u32_e32 v2, s68, v2                                  // 000000006EDC: 68040444
	v_add_u32_e32 v208, s100, v208                             // 000000006EE0: 69A1A064
	v_add_u32_e32 v209, s100, v209                             // 000000006EE4: 69A3A264
	s_mov_b32 m0, s78                                          // 000000006EE8: BEFC004E
	v_add_u32_e32 v9, s69, v9                                  // 000000006EEC: 68121245
	v_mfma_f32_16x16x16_f16 v[140:143], v[62:63], a[46:47], v[140:143]// 000000006EF0: D3CD008C 16325D3E
	s_cmp_ge_u32 s59, s73                                      // 000000006EF8: BF09493B
	s_cselect_b32 s66, s67, s66                                // 000000006EFC: 85424243
	s_addk_i32 s59, 0x10                                       // 000000006F00: B73B0010
	s_nop 0                                                    // 000000006F04: BF800000
	s_cmp_lt_i32 s59, s58                                      // 000000006F08: BF043A3B
	s_cbranch_scc0 label_0A42                                  // 000000006F0C: BF84FDFE
	s_waitcnt lgkmcnt(0)                                       // 000000006F10: BF8CC07F
	s_barrier                                                  // 000000006F14: BF8A0000
	v_mfma_f32_16x16x16_f16 v[56:59], a[72:73], a[0:1], 0      // 000000006F18: D3CD0038 1A020148
	v_mul_f32_e32 v132, s47, v132                              // 000000006F20: 0B09082F
	v_mul_f32_e32 v133, s47, v133                              // 000000006F24: 0B0B0A2F
	v_mul_f32_e32 v134, s47, v134                              // 000000006F28: 0B0D0C2F
	v_mul_f32_e32 v135, s47, v135                              // 000000006F2C: 0B0F0E2F
	v_mfma_f32_16x16x16_f16 v[56:59], a[74:75], a[2:3], v[56:59]// 000000006F30: D3CD0038 1CE2054A
	ds_write_b32 v11, v44 offset:13056                         // 000000006F38: D81A3300 00002C0B
	ds_write_b32 v11, v45 offset:14112                         // 000000006F40: D81A3720 00002D0B
	ds_write_b32 v11, v46 offset:15232                         // 000000006F48: D81A3B80 00002E0B
	v_mfma_f32_16x16x16_f16 v[56:59], a[76:77], a[4:5], v[56:59]// 000000006F50: D3CD0038 1CE2094C
	v_mul_f32_e32 v136, s47, v136                              // 000000006F58: 0B11102F
	v_mul_f32_e32 v137, s47, v137                              // 000000006F5C: 0B13122F
	v_mul_f32_e32 v138, s47, v138                              // 000000006F60: 0B15142F
	v_mul_f32_e32 v139, s47, v139                              // 000000006F64: 0B17162F
	v_mfma_f32_16x16x16_f16 v[56:59], a[78:79], a[6:7], v[56:59]// 000000006F68: D3CD0038 1CE20D4E
	ds_write_b32 v11, v47 offset:16288                         // 000000006F70: D81A3FA0 00002F0B
	ds_write_b32 v11, v48 offset:17408                         // 000000006F78: D81A4400 0000300B
	ds_write_b32 v11, v49 offset:18464                         // 000000006F80: D81A4820 0000310B
	v_mfma_f32_16x16x16_f16 v[56:59], a[80:81], a[8:9], v[56:59]// 000000006F88: D3CD0038 1CE21150
	v_mul_f32_e32 v140, s47, v140                              // 000000006F90: 0B19182F
	v_mul_f32_e32 v141, s47, v141                              // 000000006F94: 0B1B1A2F
	v_mul_f32_e32 v142, s47, v142                              // 000000006F98: 0B1D1C2F
	v_mul_f32_e32 v143, s47, v143                              // 000000006F9C: 0B1F1E2F
	v_mfma_f32_16x16x16_f16 v[56:59], a[82:83], a[10:11], v[56:59]// 000000006FA0: D3CD0038 1CE21552
	ds_write_b64 v20, v[132:133] offset:28416                  // 000000006FA8: D89A6F00 00008414
	ds_write_b64 v20, v[134:135] offset:28928                  // 000000006FB0: D89A7100 00008614
	v_mfma_f32_16x16x16_f16 v[56:59], a[84:85], a[12:13], v[56:59]// 000000006FB8: D3CD0038 1CE21954
	ds_write_b64 v20, v[136:137] offset:29440                  // 000000006FC0: D89A7300 00008814
	ds_write_b64 v20, v[138:139] offset:29952                  // 000000006FC8: D89A7500 00008A14
	v_mfma_f32_16x16x16_f16 v[56:59], a[86:87], a[14:15], v[56:59]// 000000006FD0: D3CD0038 1CE21D56
	ds_write_b64 v20, v[140:141] offset:30464                  // 000000006FD8: D89A7700 00008C14
	ds_write_b64 v20, v[142:143] offset:30976                  // 000000006FE0: D89A7900 00008E14
	v_mfma_f32_16x16x16_f16 v[56:59], a[88:89], a[16:17], v[56:59]// 000000006FE8: D3CD0038 1CE22158
	ds_read_b128 v[104:107], v12 offset:19584                  // 000000006FF0: D9FE4C80 6800000C
	v_mfma_f32_16x16x16_f16 v[56:59], a[90:91], a[18:19], v[56:59]// 000000006FF8: D3CD0038 1CE2255A
	ds_read_b128 v[108:111], v12 offset:20096                  // 000000007000: D9FE4E80 6C00000C
	v_mfma_f32_16x16x16_f16 v[56:59], a[92:93], a[20:21], v[56:59]// 000000007008: D3CD0038 1CE2295C
	ds_read_b128 v[112:115], v12 offset:21760                  // 000000007010: D9FE5500 7000000C
	ds_read_b128 v[116:119], v12 offset:22272                  // 000000007018: D9FE5700 7400000C
	v_mfma_f32_16x16x16_f16 v[56:59], a[94:95], a[22:23], v[56:59]// 000000007020: D3CD0038 1CE22D5E
	ds_read_b128 v[120:123], v12 offset:23936                  // 000000007028: D9FE5D80 7800000C
	ds_read_b128 v[124:127], v12 offset:24448                  // 000000007030: D9FE5F80 7C00000C
	s_cmp_lt_i32 s74, 4                                        // 000000007038: BF04844A
	s_cbranch_scc0 label_0CBA                                  // 00000000703C: BF84002A
	s_mov_b32 s60, 0xffe0fffe                                  // 000000007040: BEBC00FF FFE0FFFE
	s_mov_b32 s61, 0xe000fe00                                  // 000000007048: BEBD00FF E000FE00
	s_nop 0                                                    // 000000007050: BF800000
	s_cmp_lt_i32 s74, s46                                      // 000000007054: BF042E4A
	s_cbranch_scc1 label_0CB5                                  // 000000007058: BF85001E
	s_cmp_eq_i32 s74, s46                                      // 00000000705C: BF002E4A
	s_cbranch_scc1 label_0C9A                                  // 000000007060: BF850001
	s_branch label_0CBA                                        // 000000007064: BF820020

0000000000007068 <label_0C9A>:
	v_cndmask_b32_e64 v56, v56, v159, s[60:61]                 // 000000007068: D1000038 00F33F38
	s_lshl_b32 s60, s60, 1                                     // 000000007070: 8E3C813C
	s_lshl_b32 s61, s61, 1                                     // 000000007074: 8E3D813D
	s_and_b32 s60, 0xfffeffff, s60                             // 000000007078: 863C3CFF FFFEFFFF
	s_and_b32 s61, 0xfffeffff, s61                             // 000000007080: 863D3DFF FFFEFFFF
	v_cndmask_b32_e64 v57, v57, v159, s[60:61]                 // 000000007088: D1000039 00F33F39
	s_lshl_b32 s60, s60, 1                                     // 000000007090: 8E3C813C
	s_lshl_b32 s61, s61, 1                                     // 000000007094: 8E3D813D
	s_and_b32 s60, 0xfffeffff, s60                             // 000000007098: 863C3CFF FFFEFFFF
	s_and_b32 s61, 0xfffeffff, s61                             // 0000000070A0: 863D3DFF FFFEFFFF
	v_cndmask_b32_e64 v58, v58, v159, s[60:61]                 // 0000000070A8: D100003A 00F33F3A
	s_lshl_b32 s60, s60, 1                                     // 0000000070B0: 8E3C813C
	s_lshl_b32 s61, s61, 1                                     // 0000000070B4: 8E3D813D
	s_and_b32 s60, 0xfffeffff, s60                             // 0000000070B8: 863C3CFF FFFEFFFF
	s_and_b32 s61, 0xfffeffff, s61                             // 0000000070C0: 863D3DFF FFFEFFFF
	v_cndmask_b32_e64 v59, v59, v159, s[60:61]                 // 0000000070C8: D100003B 00F33F3B
	s_branch label_0CBA                                        // 0000000070D0: BF820005

00000000000070d4 <label_0CB5>:
	v_mov_b32_e32 v56, v159                                    // 0000000070D4: 7E70039F
	v_mov_b32_e32 v57, v159                                    // 0000000070D8: 7E72039F
	v_mov_b32_e32 v58, v159                                    // 0000000070DC: 7E74039F
	v_mov_b32_e32 v59, v159                                    // 0000000070E0: 7E76039F
	s_branch label_0CBA                                        // 0000000070E4: BF820000

00000000000070e8 <label_0CBA>:
	s_cmp_lt_i32 s84, 64                                       // 0000000070E8: BF04C054
	s_cbranch_scc0 label_0CCB                                  // 0000000070EC: BF84000F
	v_and_b32_e32 v28, 15, v0                                  // 0000000070F0: 2638008F
	v_mul_i32_i24_e64 v29, s46, 16                             // 0000000070F4: D106001D 0001202E
	v_add_u32_e32 v28, v28, v29                                // 0000000070FC: 68383B1C
	v_cmp_lt_u32_e64 s[60:61], v28, s84                        // 000000007100: D0C9003C 0000A91C
	s_nop 1                                                    // 000000007108: BF800001
	v_cndmask_b32_e64 v56, v159, v56, s[60:61]                 // 00000000710C: D1000038 00F2719F
	v_cndmask_b32_e64 v57, v159, v57, s[60:61]                 // 000000007114: D1000039 00F2739F
	v_cndmask_b32_e64 v58, v159, v58, s[60:61]                 // 00000000711C: D100003A 00F2759F
	v_cndmask_b32_e64 v59, v159, v59, s[60:61]                 // 000000007124: D100003B 00F2779F

000000000000712c <label_0CCB>:
	s_addk_i32 s74, 0x1                                        // 00000000712C: B74A0001
	s_waitcnt lgkmcnt(6)                                       // 000000007130: BF8CC67F
	s_barrier                                                  // 000000007134: BF8A0000
	v_mfma_f32_16x16x16_f16 v[64:67], v[80:81], a[48:49], 0    // 000000007138: D3CD0040 12026150
	v_fma_f32 v56, v56, s57, -v128                             // 000000007140: D1CB0038 86007338
	v_fma_f32 v57, v57, s57, -v129                             // 000000007148: D1CB0039 86047339
	v_fma_f32 v58, v58, s57, -v130                             // 000000007150: D1CB003A 8608733A
	v_fma_f32 v59, v59, s57, -v131                             // 000000007158: D1CB003B 860C733B
	v_mfma_f32_16x16x16_f16 v[64:67], v[82:83], a[50:51], v[64:67]// 000000007160: D3CD0040 15026552
	ds_read_b128 a[72:75], v12 offset:6528                     // 000000007168: DBFE1980 4800000C
	ds_read_b128 a[76:79], v12 offset:7040                     // 000000007170: DBFE1B80 4C00000C
	ds_write_b32 v11, v32                                      // 000000007178: D81A0000 0000200B
	ds_write_b32 v11, v33 offset:1056                          // 000000007180: D81A0420 0000210B
	v_mfma_f32_16x16x16_f16 v[64:67], v[84:85], a[52:53], v[64:67]// 000000007188: D3CD0040 15026954
	v_exp_f32_e32 v56, v56                                     // 000000007190: 7E704138
	v_mfma_f32_16x16x16_f16 v[64:67], v[86:87], a[54:55], v[64:67]// 000000007194: D3CD0040 15026D56
	ds_read_b128 a[80:83], v12 offset:8704                     // 00000000719C: DBFE2200 5000000C
	ds_read_b128 a[84:87], v12 offset:9216                     // 0000000071A4: DBFE2400 5400000C
	ds_write_b32 v11, v34 offset:2176                          // 0000000071AC: D81A0880 0000220B
	v_mfma_f32_16x16x16_f16 v[64:67], v[88:89], a[56:57], v[64:67]// 0000000071B4: D3CD0040 15027158
	v_exp_f32_e32 v57, v57                                     // 0000000071BC: 7E724139
	v_mfma_f32_16x16x16_f16 v[64:67], v[90:91], a[58:59], v[64:67]// 0000000071C0: D3CD0040 1502755A
	ds_read_b128 a[88:91], v12 offset:10880                    // 0000000071C8: DBFE2A80 5800000C
	ds_read_b128 a[92:95], v12 offset:11392                    // 0000000071D0: DBFE2C80 5C00000C
	ds_write_b32 v11, v35 offset:3232                          // 0000000071D8: D81A0CA0 0000230B
	v_mfma_f32_16x16x16_f16 v[64:67], v[92:93], a[60:61], v[64:67]// 0000000071E0: D3CD0040 1502795C
	v_exp_f32_e32 v58, v58                                     // 0000000071E8: 7E74413A
	v_mfma_f32_16x16x16_f16 v[64:67], v[94:95], a[62:63], v[64:67]// 0000000071EC: D3CD0040 15027D5E
	ds_read_b64 v[144:145], v19 offset:28416                   // 0000000071F4: D8EC6F00 90000013
	ds_read_b64 v[146:147], v19 offset:30464                   // 0000000071FC: D8EC7700 92000013
	ds_read_b64 v[148:149], v19 offset:32512                   // 000000007204: D8EC7F00 94000013
	ds_write_b32 v11, v36 offset:4352                          // 00000000720C: D81A1100 0000240B
	v_mfma_f32_16x16x16_f16 v[64:67], v[96:97], a[64:65], v[64:67]// 000000007214: D3CD0040 15028160
	v_exp_f32_e32 v59, v59                                     // 00000000721C: 7E76413B
	v_mfma_f32_16x16x16_f16 v[64:67], v[98:99], a[66:67], v[64:67]// 000000007220: D3CD0040 15028562
	ds_read_b64 v[150:151], v19 offset:34560                   // 000000007228: D8EC8700 96000013
	ds_read_b64 v[152:153], v19 offset:36608                   // 000000007230: D8EC8F00 98000013
	ds_read_b64 v[154:155], v19 offset:38656                   // 000000007238: D8EC9700 9A000013
	ds_write_b32 v11, v37 offset:5408                          // 000000007240: D81A1520 0000250B
	v_mfma_f32_16x16x16_f16 v[64:67], v[100:101], a[68:69], v[64:67]// 000000007248: D3CD0040 15028964
	v_cvt_pkrtz_f16_f32 v156, v56, v57                         // 000000007250: D296009C 00027338
	v_mfma_f32_16x16x16_f16 v[64:67], v[102:103], a[70:71], v[64:67]// 000000007258: D3CD0040 15028D66
	v_cvt_pkrtz_f16_f32 v157, v58, v59                         // 000000007260: D296009D 0002773A
	v_add_u32_e32 v7, s66, v7                                  // 000000007268: 680E0E42
	v_add_u32_e32 v8, s66, v8                                  // 00000000726C: 68101042
	s_waitcnt lgkmcnt(0)                                       // 000000007270: BF8CC07F
	s_barrier                                                  // 000000007274: BF8A0000
	v_mfma_f32_16x16x16_f16 v[160:163], v[104:105], v[156:157], v[160:163]// 000000007278: D3CD00A0 06833968
	v_subrev_f32_dpp v64, v158, v64 quad_perm:[0,0,0,0] row_mask:0xf bank_mask:0xf// 000000007280: 068080FA FF00009E
	v_subrev_f32_dpp v65, v158, v65 quad_perm:[1,1,1,1] row_mask:0xf bank_mask:0xf// 000000007288: 068282FA FF00559E
	buffer_atomic_add_f32 v144, v7, s[32:35], 0 offen          // 000000007290: E1341000 80089007
	v_mfma_f32_16x16x16_f16 v[164:167], v[106:107], v[156:157], v[164:167]// 000000007298: D3CD00A4 0693396A
	v_subrev_f32_dpp v66, v158, v66 quad_perm:[2,2,2,2] row_mask:0xf bank_mask:0xf// 0000000072A0: 068484FA FF00AA9E
	v_subrev_f32_dpp v67, v158, v67 quad_perm:[3,3,3,3] row_mask:0xf bank_mask:0xf// 0000000072A8: 068686FA FF00FF9E
	buffer_atomic_add_f32 v145, v8, s[32:35], 0 offen          // 0000000072B0: E1341000 80089108
	v_mfma_f32_16x16x16_f16 v[168:171], v[108:109], v[156:157], v[168:171]// 0000000072B8: D3CD00A8 06A3396C
	v_mul_f32_e32 v64, v56, v64                                // 0000000072C0: 0A808138
	v_mul_f32_e32 v65, v57, v65                                // 0000000072C4: 0A828339
	buffer_atomic_add_f32 v146, v7, s[32:35], 0 offen offset:128// 0000000072C8: E1341080 80089207
	v_mfma_f32_16x16x16_f16 v[172:175], v[110:111], v[156:157], v[172:175]// 0000000072D0: D3CD00AC 06B3396E
	v_mul_f32_e32 v66, v58, v66                                // 0000000072D8: 0A84853A
	v_mul_f32_e32 v67, v59, v67                                // 0000000072DC: 0A86873B
	buffer_atomic_add_f32 v147, v8, s[32:35], 0 offen offset:128// 0000000072E0: E1341080 80089308
	v_mfma_f32_16x16x16_f16 v[176:179], v[112:113], v[156:157], v[176:179]// 0000000072E8: D3CD00B0 06C33970
	v_cvt_pkrtz_f16_f32 v64, v64, v65                          // 0000000072F0: D2960040 00028340
	v_mfma_f32_16x16x16_f16 v[180:183], v[114:115], v[156:157], v[180:183]// 0000000072F8: D3CD00B4 06D33972
	v_cvt_pkrtz_f16_f32 v65, v66, v67                          // 000000007300: D2960041 00028742
	v_mfma_f32_16x16x16_f16 v[184:187], v[116:117], v[156:157], v[184:187]// 000000007308: D3CD00B8 06E33974
	v_mov_b32_dpp v16, v64 quad_perm:[1,0,3,2] row_mask:0xf bank_mask:0xf// 000000007310: 7E2002FA FF00B140
	v_perm_b32 v56, v16, v64, v15                              // 000000007318: D1ED0038 043E8110
	buffer_atomic_add_f32 v148, v7, s[32:35], 0 offen offset:256// 000000007320: E1341100 80089407
	v_mfma_f32_16x16x16_f16 v[188:191], v[118:119], v[156:157], v[188:191]// 000000007328: D3CD00BC 06F33976
	v_mov_b32_dpp v16, v65 quad_perm:[1,0,3,2] row_mask:0xf bank_mask:0xf// 000000007330: 7E2002FA FF00B141
	v_perm_b32 v57, v16, v65, v15                              // 000000007338: D1ED0039 043E8310
	buffer_atomic_add_f32 v149, v8, s[32:35], 0 offen offset:256// 000000007340: E1341100 80089508
	v_mfma_f32_16x16x16_f16 v[192:195], v[120:121], v[156:157], v[192:195]// 000000007348: D3CD00C0 07033978
	ds_write_b32 v13, v68 offset:6528                          // 000000007350: D81A1980 0000440D
	ds_write_b32 v13, v69 offset:7584                          // 000000007358: D81A1DA0 0000450D
	v_mfma_f32_16x16x16_f16 v[196:199], v[122:123], v[156:157], v[196:199]// 000000007360: D3CD00C4 0713397A
	ds_write_b32 v18, v56 offset:26112                         // 000000007368: D81A6600 00003812
	ds_write_b32 v18, v57 offset:26656                         // 000000007370: D81A6820 00003912
	v_mfma_f32_16x16x16_f16 v[200:203], v[124:125], v[156:157], v[200:203]// 000000007378: D3CD00C8 0723397C
	ds_write_b32 v13, v70 offset:8704                          // 000000007380: D81A2200 0000460D
	ds_write_b32 v13, v71 offset:9760                          // 000000007388: D81A2620 0000470D
	v_mfma_f32_16x16x16_f16 v[204:207], v[126:127], v[156:157], v[204:207]// 000000007390: D3CD00CC 0733397E
	ds_write_b32 v13, v72 offset:10880                         // 000000007398: D81A2A80 0000480D
	ds_write_b32 v13, v73 offset:11936                         // 0000000073A0: D81A2EA0 0000490D
	s_barrier                                                  // 0000000073A8: BF8A0000
	v_mfma_f32_16x16x16_f16 a[96:99], a[72:73], v[64:65], a[96:99]// 0000000073AC: D3CD8060 0D828148
	ds_read_b32 v128, v21 offset:40704                         // 0000000073B4: D86C9F00 80000015
	ds_read_b32 v158, v21 offset:40960                         // 0000000073BC: D86CA000 9E000015
	v_mfma_f32_16x16x16_f16 a[100:103], a[74:75], v[64:65], a[100:103]// 0000000073C4: D3CD8064 0D92814A
	buffer_atomic_add_f32 v150, v7, s[32:35], 0 offen offset:384// 0000000073CC: E1341180 80089607
	buffer_atomic_add_f32 v151, v8, s[32:35], 0 offen offset:384// 0000000073D4: E1341180 80089708
	v_mfma_f32_16x16x16_f16 a[104:107], a[76:77], v[64:65], a[104:107]// 0000000073DC: D3CD8068 0DA2814C
	s_waitcnt lgkmcnt(6)                                       // 0000000073E4: BF8CC67F
	s_barrier                                                  // 0000000073E8: BF8A0000
	v_mfma_f32_16x16x16_f16 a[108:111], a[78:79], v[64:65], a[108:111]// 0000000073EC: D3CD806C 0DB2814E
	s_mov_b64 exec, s[82:83]                                   // 0000000073F4: BEFE0152
	buffer_atomic_add_f32 v152, v7, s[32:35], 0 offen offset:512// 0000000073F8: E1341200 80089807
	s_mov_b32 exec_lo, -1                                      // 000000007400: BEFE00C1
	s_mov_b32 exec_hi, -1                                      // 000000007404: BEFF00C1
	v_mfma_f32_16x16x16_f16 a[112:115], a[80:81], v[64:65], a[112:115]// 000000007408: D3CD8070 0DC28150
	ds_read_b128 v[56:59], v17 offset:26112                    // 000000007410: D9FE6600 38000011
	v_mfma_f32_16x16x16_f16 a[116:119], a[82:83], v[64:65], a[116:119]// 000000007418: D3CD8074 0DD28152
	s_mov_b64 exec, s[82:83]                                   // 000000007420: BEFE0152
	buffer_atomic_add_f32 v153, v8, s[32:35], 0 offen offset:512// 000000007424: E1341200 80089908
	s_mov_b32 exec_lo, -1                                      // 00000000742C: BEFE00C1
	s_mov_b32 exec_hi, -1                                      // 000000007430: BEFF00C1
	v_mfma_f32_16x16x16_f16 a[120:123], a[84:85], v[64:65], a[120:123]// 000000007434: D3CD8078 0DE28154
	ds_read_b128 v[60:63], v17 offset:27264                    // 00000000743C: D9FE6A80 3C000011
	v_mfma_f32_16x16x16_f16 a[124:127], a[86:87], v[64:65], a[124:127]// 000000007444: D3CD807C 0DF28156
	s_mov_b64 exec, s[92:93]                                   // 00000000744C: BEFE015C
	buffer_atomic_add_f32 v154, v7, s[32:35], 0 offen offset:640// 000000007450: E1341280 80089A07
	s_mov_b32 exec_lo, -1                                      // 000000007458: BEFE00C1
	s_mov_b32 exec_hi, -1                                      // 00000000745C: BEFF00C1
	v_mfma_f32_16x16x16_f16 a[128:131], a[88:89], v[64:65], a[128:131]// 000000007460: D3CD8080 0E028158
	ds_write_b32 v13, v74 offset:19584                         // 000000007468: D81A4C80 00004A0D
	ds_write_b32 v13, v75 offset:20640                         // 000000007470: D81A50A0 00004B0D
	v_mfma_f32_16x16x16_f16 a[132:135], a[90:91], v[64:65], a[132:135]// 000000007478: D3CD8084 0E12815A
	s_mov_b64 exec, s[92:93]                                   // 000000007480: BEFE015C
	buffer_atomic_add_f32 v155, v8, s[32:35], 0 offen offset:640// 000000007484: E1341280 80089B08
	s_mov_b32 exec_lo, -1                                      // 00000000748C: BEFE00C1
	s_mov_b32 exec_hi, -1                                      // 000000007490: BEFF00C1
	v_mfma_f32_16x16x16_f16 a[136:139], a[92:93], v[64:65], a[136:139]// 000000007494: D3CD8088 0E22815C
	ds_write_b32 v13, v76 offset:21760                         // 00000000749C: D81A5500 00004C0D
	ds_write_b32 v13, v77 offset:22816                         // 0000000074A4: D81A5920 00004D0D
	v_mfma_f32_16x16x16_f16 a[140:143], a[94:95], v[64:65], a[140:143]// 0000000074AC: D3CD808C 0E32815E
	ds_write_b32 v13, v78 offset:23936                         // 0000000074B4: D81A5D80 00004E0D
	ds_write_b32 v13, v79 offset:24992                         // 0000000074BC: D81A61A0 00004F0D
	s_waitcnt vmcnt(12) lgkmcnt(6)                             // 0000000074C4: BF8C067C
	s_barrier                                                  // 0000000074C8: BF8A0000
	v_mfma_f32_16x16x16_f16 v[132:135], v[56:57], a[24:25], 0  // 0000000074CC: D3CD0084 12023138
	ds_read_b128 a[72:75], v10                                 // 0000000074D4: DBFE0000 4800000A
	ds_read_b128 a[76:79], v10 offset:512                      // 0000000074DC: DBFE0200 4C00000A
	ds_read_b128 a[80:83], v10 offset:2176                     // 0000000074E4: DBFE0880 5000000A
	buffer_load_dword v32, v1, s[8:11], 0 idxen                // 0000000074EC: E0502000 80022001
	buffer_load_dword v33, v2, s[8:11], 0 idxen                // 0000000074F4: E0502000 80022102
	v_mfma_f32_16x16x16_f16 v[132:135], v[58:59], a[30:31], v[132:135]// 0000000074FC: D3CD0084 16123D3A
	v_mul_f32_e32 v128, s48, v128                              // 000000007504: 0B010030
	v_perm_b32 v68, v39, v38, s63                              // 000000007508: D1ED0044 00FE4D27
	v_perm_b32 v69, v39, v38, s64                              // 000000007510: D1ED0045 01024D27
	v_perm_b32 v70, v41, v40, s63                              // 000000007518: D1ED0046 00FE5129
	v_mfma_f32_16x16x16_f16 v[132:135], v[60:61], a[36:37], v[132:135]// 000000007520: D3CD0084 1612493C
	ds_read_b128 a[84:87], v10 offset:2688                     // 000000007528: DBFE0A80 5400000A
	ds_read_b128 a[88:91], v10 offset:4352                     // 000000007530: DBFE1100 5800000A
	ds_read_b128 a[92:95], v10 offset:4864                     // 000000007538: DBFE1300 5C00000A
	buffer_load_dword v34, v1, s[8:11], 0 idxen offset:128     // 000000007540: E0502080 80022201
	buffer_load_dword v35, v2, s[8:11], 0 idxen offset:128     // 000000007548: E0502080 80022302
	v_mfma_f32_16x16x16_f16 v[132:135], v[62:63], a[42:43], v[132:135]// 000000007550: D3CD0084 1612553E
	v_perm_b32 v71, v41, v40, s64                              // 000000007558: D1ED0047 01025129
	v_perm_b32 v72, v43, v42, s63                              // 000000007560: D1ED0048 00FE552B
	v_perm_b32 v73, v43, v42, s64                              // 000000007568: D1ED0049 0102552B
	v_mfma_f32_16x16x16_f16 v[136:139], v[56:57], a[26:27], 0  // 000000007570: D3CD0088 12023538
	ds_read_b128 v[80:83], v10 offset:13056                    // 000000007578: D9FE3300 5000000A
	ds_read_b128 v[84:87], v10 offset:13568                    // 000000007580: D9FE3500 5400000A
	ds_read_b128 v[88:91], v10 offset:15232                    // 000000007588: D9FE3B80 5800000A
	buffer_load_dword v44, v208, s[20:23], 0 idxen             // 000000007590: E0502000 80052CD0
	buffer_load_dword v45, v209, s[20:23], 0 idxen             // 000000007598: E0502000 80052DD1
	v_mfma_f32_16x16x16_f16 v[136:139], v[58:59], a[32:33], v[136:139]// 0000000075A0: D3CD0088 1622413A
	v_perm_b32 v74, v51, v50, s63                              // 0000000075A8: D1ED004A 00FE6533
	v_perm_b32 v75, v51, v50, s64                              // 0000000075B0: D1ED004B 01026533
	v_perm_b32 v76, v53, v52, s63                              // 0000000075B8: D1ED004C 00FE6935
	v_mov_b32_dpp v131, v128 quad_perm:[3,3,3,3] row_mask:0xf bank_mask:0xf// 0000000075C0: 7F0602FA FF00FF80
	v_mov_b32_dpp v130, v128 quad_perm:[2,2,2,2] row_mask:0xf bank_mask:0xf// 0000000075C8: 7F0402FA FF00AA80
	v_mfma_f32_16x16x16_f16 v[136:139], v[60:61], a[38:39], v[136:139]// 0000000075D0: D3CD0088 16224D3C
	ds_read_b128 v[92:95], v10 offset:15744                    // 0000000075D8: D9FE3D80 5C00000A
	ds_read_b128 v[96:99], v10 offset:17408                    // 0000000075E0: D9FE4400 6000000A
	ds_read_b128 v[100:103], v10 offset:17920                  // 0000000075E8: D9FE4600 6400000A
	buffer_load_dword v46, v208, s[20:23], 0 idxen offset:128  // 0000000075F0: E0502080 80052ED0
	buffer_load_dword v47, v209, s[20:23], 0 idxen offset:128  // 0000000075F8: E0502080 80052FD1
	v_mfma_f32_16x16x16_f16 v[136:139], v[62:63], a[44:45], v[136:139]// 000000007600: D3CD0088 1622593E
	v_perm_b32 v77, v53, v52, s64                              // 000000007608: D1ED004D 01026935
	v_perm_b32 v78, v55, v54, s63                              // 000000007610: D1ED004E 00FE6D37
	v_perm_b32 v79, v55, v54, s64                              // 000000007618: D1ED004F 01026D37
	v_mov_b32_dpp v129, v128 quad_perm:[1,1,1,1] row_mask:0xf bank_mask:0xf// 000000007620: 7F0202FA FF005580
	v_mov_b32_dpp v128, v128 quad_perm:[0,0,0,0] row_mask:0xf bank_mask:0xf// 000000007628: 7F0002FA FF000080
	v_mfma_f32_16x16x16_f16 v[140:143], v[56:57], a[28:29], 0  // 000000007630: D3CD008C 12023938
	buffer_load_dword v9, s[24:27], 0 idxen lds                // 000000007638: E0512000 80060009
	v_mov_b32_e32 v36, 0                                       // 000000007640: 7E480280
	s_mov_b64 exec, s[80:81]                                   // 000000007644: BEFE0150
	buffer_load_dword v36, v1, s[8:11], 0 idxen offset:256     // 000000007648: E0502100 80022401
	s_mov_b32 exec_lo, -1                                      // 000000007650: BEFE00C1
	s_mov_b32 exec_hi, -1                                      // 000000007654: BEFF00C1
	v_mov_b32_e32 v37, 0                                       // 000000007658: 7E4A0280
	s_mov_b64 exec, s[80:81]                                   // 00000000765C: BEFE0150
	buffer_load_dword v37, v2, s[8:11], 0 idxen offset:256     // 000000007660: E0502100 80022502
	s_mov_b32 exec_lo, -1                                      // 000000007668: BEFE00C1
	s_mov_b32 exec_hi, -1                                      // 00000000766C: BEFF00C1
	v_mfma_f32_16x16x16_f16 v[140:143], v[58:59], a[34:35], v[140:143]// 000000007670: D3CD008C 1632453A
	s_add_u32 s60, 64, s59                                     // 000000007678: 803C3BC0
	s_cmp_lt_u32 s60, s58                                      // 00000000767C: BF0A3A3C
	s_cselect_b32 s68, s68, 0                                  // 000000007680: 85448044
	s_cselect_b32 s100, s100, 0                                // 000000007684: 85648064
	s_cselect_b32 s69, s69, 0                                  // 000000007688: 85458045
	v_mfma_f32_16x16x16_f16 v[140:143], v[60:61], a[40:41], v[140:143]// 00000000768C: D3CD008C 1632513C
	v_mov_b32_e32 v48, 0                                       // 000000007694: 7E600280
	s_mov_b64 exec, s[80:81]                                   // 000000007698: BEFE0150
	buffer_load_dword v48, v208, s[20:23], 0 idxen offset:256  // 00000000769C: E0502100 800530D0
	s_mov_b32 exec_lo, -1                                      // 0000000076A4: BEFE00C1
	s_mov_b32 exec_hi, -1                                      // 0000000076A8: BEFF00C1
	v_mov_b32_e32 v49, 0                                       // 0000000076AC: 7E620280
	s_mov_b64 exec, s[80:81]                                   // 0000000076B0: BEFE0150
	buffer_load_dword v49, v209, s[20:23], 0 idxen offset:256  // 0000000076B4: E0502100 800531D1
	s_mov_b32 exec_lo, -1                                      // 0000000076BC: BEFE00C1
	s_mov_b32 exec_hi, -1                                      // 0000000076C0: BEFF00C1
	v_add_u32_e32 v1, s68, v1                                  // 0000000076C4: 68020244
	v_add_u32_e32 v2, s68, v2                                  // 0000000076C8: 68040444
	v_add_u32_e32 v208, s100, v208                             // 0000000076CC: 69A1A064
	v_add_u32_e32 v209, s100, v209                             // 0000000076D0: 69A3A264
	s_mov_b32 m0, s79                                          // 0000000076D4: BEFC004F
	v_add_u32_e32 v9, s69, v9                                  // 0000000076D8: 68121245
	v_mfma_f32_16x16x16_f16 v[140:143], v[62:63], a[46:47], v[140:143]// 0000000076DC: D3CD008C 16325D3E
	s_cmp_ge_u32 s59, s73                                      // 0000000076E4: BF09493B
	s_cselect_b32 s66, s67, s66                                // 0000000076E8: 85424243
	s_addk_i32 s59, 0x10                                       // 0000000076EC: B73B0010
	s_nop 0                                                    // 0000000076F0: BF800000
	s_cmp_lt_i32 s59, s58                                      // 0000000076F4: BF043A3B
	s_cbranch_scc0 label_0A42                                  // 0000000076F8: BF84FC03
	s_branch label_0A49                                        // 0000000076FC: BF82FC09

0000000000007700 <label_0E40>:
	v_add_u32_e32 v7, s66, v7                                  // 000000007700: 680E0E42
	v_add_u32_e32 v8, s66, v8                                  // 000000007704: 68101042
	v_lshrrev_b32_e32 v28, 5, v0                               // 000000007708: 20380085
	v_mul_i32_i24_e32 v25, 0x44, v28                           // 00000000770C: 0C3238FF 00000044
	v_and_b32_e32 v28, 31, v0                                  // 000000007714: 2638009F
	v_mul_i32_i24_e32 v29, 2, v28                              // 000000007718: 0C3A3882
	v_add_u32_e32 v25, v29, v25                                // 00000000771C: 6832331D
	s_mul_i32 s60, s46, 0x660                                  // 000000007720: 923CFF2E 00000660
	v_add_u32_e32 v25, s60, v25                                // 000000007728: 6832323C
	v_lshlrev_b32_e32 v25, 2, v25                              // 00000000772C: 24323282
	v_mul_f32_e32 v132, s47, v132                              // 000000007730: 0B09082F
	v_mul_f32_e32 v133, s47, v133                              // 000000007734: 0B0B0A2F
	v_mul_f32_e32 v134, s47, v134                              // 000000007738: 0B0D0C2F
	v_mul_f32_e32 v135, s47, v135                              // 00000000773C: 0B0F0E2F
	v_mul_f32_e32 v136, s47, v136                              // 000000007740: 0B11102F
	v_mul_f32_e32 v137, s47, v137                              // 000000007744: 0B13122F
	v_mul_f32_e32 v138, s47, v138                              // 000000007748: 0B15142F
	v_mul_f32_e32 v139, s47, v139                              // 00000000774C: 0B17162F
	v_mul_f32_e32 v140, s47, v140                              // 000000007750: 0B19182F
	v_mul_f32_e32 v141, s47, v141                              // 000000007754: 0B1B1A2F
	v_mul_f32_e32 v142, s47, v142                              // 000000007758: 0B1D1C2F
	v_mul_f32_e32 v143, s47, v143                              // 00000000775C: 0B1F1E2F
	ds_write_b64 v20, v[132:133] offset:28416                  // 000000007760: D89A6F00 00008414
	ds_write_b64 v20, v[134:135] offset:28928                  // 000000007768: D89A7100 00008614
	ds_write_b64 v20, v[136:137] offset:29440                  // 000000007770: D89A7300 00008814
	ds_write_b64 v20, v[138:139] offset:29952                  // 000000007778: D89A7500 00008A14
	ds_write_b64 v20, v[140:141] offset:30464                  // 000000007780: D89A7700 00008C14
	ds_write_b64 v20, v[142:143] offset:30976                  // 000000007788: D89A7900 00008E14
	s_waitcnt lgkmcnt(0)                                       // 000000007790: BF8CC07F
	s_barrier                                                  // 000000007794: BF8A0000
	ds_read_b64 v[144:145], v19 offset:28416                   // 000000007798: D8EC6F00 90000013
	ds_read_b64 v[146:147], v19 offset:30464                   // 0000000077A0: D8EC7700 92000013
	ds_read_b64 v[148:149], v19 offset:32512                   // 0000000077A8: D8EC7F00 94000013
	ds_read_b64 v[150:151], v19 offset:34560                   // 0000000077B0: D8EC8700 96000013
	ds_read_b64 v[152:153], v19 offset:36608                   // 0000000077B8: D8EC8F00 98000013
	ds_read_b64 v[154:155], v19 offset:38656                   // 0000000077C0: D8EC9700 9A000013
	s_waitcnt lgkmcnt(0)                                       // 0000000077C8: BF8CC07F
	s_barrier                                                  // 0000000077CC: BF8A0000
	buffer_atomic_add_f32 v144, v7, s[32:35], 0 offen          // 0000000077D0: E1341000 80089007
	buffer_atomic_add_f32 v145, v8, s[32:35], 0 offen          // 0000000077D8: E1341000 80089108
	buffer_atomic_add_f32 v146, v7, s[32:35], 0 offen offset:128// 0000000077E0: E1341080 80089207
	buffer_atomic_add_f32 v147, v8, s[32:35], 0 offen offset:128// 0000000077E8: E1341080 80089308
	buffer_atomic_add_f32 v148, v7, s[32:35], 0 offen offset:256// 0000000077F0: E1341100 80089407
	buffer_atomic_add_f32 v149, v8, s[32:35], 0 offen offset:256// 0000000077F8: E1341100 80089508
	buffer_atomic_add_f32 v150, v7, s[32:35], 0 offen offset:384// 000000007800: E1341180 80089607
	buffer_atomic_add_f32 v151, v8, s[32:35], 0 offen offset:384// 000000007808: E1341180 80089708
	s_mov_b64 exec, s[82:83]                                   // 000000007810: BEFE0152
	buffer_atomic_add_f32 v152, v7, s[32:35], 0 offen offset:512// 000000007814: E1341200 80089807
	s_mov_b32 exec_lo, -1                                      // 00000000781C: BEFE00C1
	s_mov_b32 exec_hi, -1                                      // 000000007820: BEFF00C1
	s_mov_b64 exec, s[82:83]                                   // 000000007824: BEFE0152
	buffer_atomic_add_f32 v153, v8, s[32:35], 0 offen offset:512// 000000007828: E1341200 80089908
	s_mov_b32 exec_lo, -1                                      // 000000007830: BEFE00C1
	s_mov_b32 exec_hi, -1                                      // 000000007834: BEFF00C1
	s_mov_b64 exec, s[92:93]                                   // 000000007838: BEFE015C
	buffer_atomic_add_f32 v154, v7, s[32:35], 0 offen offset:640// 00000000783C: E1341280 80089A07
	s_mov_b32 exec_lo, -1                                      // 000000007844: BEFE00C1
	s_mov_b32 exec_hi, -1                                      // 000000007848: BEFF00C1
	s_mov_b64 exec, s[92:93]                                   // 00000000784C: BEFE015C
	buffer_atomic_add_f32 v155, v8, s[32:35], 0 offen offset:640// 000000007850: E1341280 80089B08
	s_mov_b32 exec_lo, -1                                      // 000000007858: BEFE00C1
	s_mov_b32 exec_hi, -1                                      // 00000000785C: BEFF00C1
	v_lshrrev_b32_e32 v28, 3, v0                               // 000000007860: 20380083
	v_mul_i32_i24_e32 v24, 2, v28                              // 000000007864: 0C303882
	v_and_b32_e32 v28, 7, v0                                   // 000000007868: 26380087
	v_mul_i32_i24_e32 v29, 0x44, v28                           // 00000000786C: 0C3A38FF 00000044
	v_add_u32_e32 v24, v29, v24                                // 000000007874: 6830311D
	s_mul_i32 s60, s46, 0x660                                  // 000000007878: 923CFF2E 00000660
	v_add_u32_e32 v24, s60, v24                                // 000000007880: 6830303C
	v_lshlrev_b32_e32 v24, 2, v24                              // 000000007884: 24303082
	v_and_b32_e32 v28, 7, v0                                   // 000000007888: 26380087
	v_mov_b32_e32 v29, s50                                     // 00000000788C: 7E3A0232
	v_mov_b32_e32 v30, 0x80                                    // 000000007890: 7E3C02FF 00000080
	v_sub_u32_e32 v29, v29, v30                                // 000000007898: 6A3A3D1D
	v_lshrrev_b32_e32 v29, 3, v29                              // 00000000789C: 203A3A83
	v_cmp_lt_u32_e64 s[80:81], v28, v29                        // 0000000078A0: D0C90050 00023B1C
	v_accvgpr_read_b32 v28, a96                                // 0000000078A8: D3D8401C 18000160
	v_accvgpr_read_b32 v29, a97                                // 0000000078B0: D3D8401D 18000161
	v_mul_f32_e32 v28, s47, v28                                // 0000000078B8: 0A38382F
	v_mul_f32_e32 v29, s47, v29                                // 0000000078BC: 0A3A3A2F
	v_cvt_pkrtz_f16_f32 v56, v28, v29                          // 0000000078C0: D2960038 00023B1C
	v_accvgpr_read_b32 v28, a98                                // 0000000078C8: D3D8401C 18000162
	v_accvgpr_read_b32 v29, a99                                // 0000000078D0: D3D8401D 18000163
	v_mul_f32_e32 v28, s47, v28                                // 0000000078D8: 0A38382F
	v_mul_f32_e32 v29, s47, v29                                // 0000000078DC: 0A3A3A2F
	v_cvt_pkrtz_f16_f32 v57, v28, v29                          // 0000000078E0: D2960039 00023B1C
	v_accvgpr_read_b32 v28, a100                               // 0000000078E8: D3D8401C 18000164
	v_accvgpr_read_b32 v29, a101                               // 0000000078F0: D3D8401D 18000165
	v_mul_f32_e32 v28, s47, v28                                // 0000000078F8: 0A38382F
	v_mul_f32_e32 v29, s47, v29                                // 0000000078FC: 0A3A3A2F
	v_cvt_pkrtz_f16_f32 v58, v28, v29                          // 000000007900: D296003A 00023B1C
	v_accvgpr_read_b32 v28, a102                               // 000000007908: D3D8401C 18000166
	v_accvgpr_read_b32 v29, a103                               // 000000007910: D3D8401D 18000167
	v_mul_f32_e32 v28, s47, v28                                // 000000007918: 0A38382F
	v_mul_f32_e32 v29, s47, v29                                // 00000000791C: 0A3A3A2F
	v_cvt_pkrtz_f16_f32 v59, v28, v29                          // 000000007920: D296003B 00023B1C
	v_accvgpr_read_b32 v28, a104                               // 000000007928: D3D8401C 18000168
	v_accvgpr_read_b32 v29, a105                               // 000000007930: D3D8401D 18000169
	v_mul_f32_e32 v28, s47, v28                                // 000000007938: 0A38382F
	v_mul_f32_e32 v29, s47, v29                                // 00000000793C: 0A3A3A2F
	v_cvt_pkrtz_f16_f32 v60, v28, v29                          // 000000007940: D296003C 00023B1C
	v_accvgpr_read_b32 v28, a106                               // 000000007948: D3D8401C 1800016A
	v_accvgpr_read_b32 v29, a107                               // 000000007950: D3D8401D 1800016B
	v_mul_f32_e32 v28, s47, v28                                // 000000007958: 0A38382F
	v_mul_f32_e32 v29, s47, v29                                // 00000000795C: 0A3A3A2F
	v_cvt_pkrtz_f16_f32 v61, v28, v29                          // 000000007960: D296003D 00023B1C
	v_accvgpr_read_b32 v28, a108                               // 000000007968: D3D8401C 1800016C
	v_accvgpr_read_b32 v29, a109                               // 000000007970: D3D8401D 1800016D
	v_mul_f32_e32 v28, s47, v28                                // 000000007978: 0A38382F
	v_mul_f32_e32 v29, s47, v29                                // 00000000797C: 0A3A3A2F
	v_cvt_pkrtz_f16_f32 v62, v28, v29                          // 000000007980: D296003E 00023B1C
	v_accvgpr_read_b32 v28, a110                               // 000000007988: D3D8401C 1800016E
	v_accvgpr_read_b32 v29, a111                               // 000000007990: D3D8401D 1800016F
	v_mul_f32_e32 v28, s47, v28                                // 000000007998: 0A38382F
	v_mul_f32_e32 v29, s47, v29                                // 00000000799C: 0A3A3A2F
	v_cvt_pkrtz_f16_f32 v63, v28, v29                          // 0000000079A0: D296003F 00023B1C
	v_accvgpr_read_b32 v28, a112                               // 0000000079A8: D3D8401C 18000170
	v_accvgpr_read_b32 v29, a113                               // 0000000079B0: D3D8401D 18000171
	v_mul_f32_e32 v28, s47, v28                                // 0000000079B8: 0A38382F
	v_mul_f32_e32 v29, s47, v29                                // 0000000079BC: 0A3A3A2F
	v_cvt_pkrtz_f16_f32 v64, v28, v29                          // 0000000079C0: D2960040 00023B1C
	v_accvgpr_read_b32 v28, a114                               // 0000000079C8: D3D8401C 18000172
	v_accvgpr_read_b32 v29, a115                               // 0000000079D0: D3D8401D 18000173
	v_mul_f32_e32 v28, s47, v28                                // 0000000079D8: 0A38382F
	v_mul_f32_e32 v29, s47, v29                                // 0000000079DC: 0A3A3A2F
	v_cvt_pkrtz_f16_f32 v65, v28, v29                          // 0000000079E0: D2960041 00023B1C
	v_accvgpr_read_b32 v28, a116                               // 0000000079E8: D3D8401C 18000174
	v_accvgpr_read_b32 v29, a117                               // 0000000079F0: D3D8401D 18000175
	v_mul_f32_e32 v28, s47, v28                                // 0000000079F8: 0A38382F
	v_mul_f32_e32 v29, s47, v29                                // 0000000079FC: 0A3A3A2F
	v_cvt_pkrtz_f16_f32 v66, v28, v29                          // 000000007A00: D2960042 00023B1C
	v_accvgpr_read_b32 v28, a118                               // 000000007A08: D3D8401C 18000176
	v_accvgpr_read_b32 v29, a119                               // 000000007A10: D3D8401D 18000177
	v_mul_f32_e32 v28, s47, v28                                // 000000007A18: 0A38382F
	v_mul_f32_e32 v29, s47, v29                                // 000000007A1C: 0A3A3A2F
	v_cvt_pkrtz_f16_f32 v67, v28, v29                          // 000000007A20: D2960043 00023B1C
	v_accvgpr_read_b32 v28, a120                               // 000000007A28: D3D8401C 18000178
	v_accvgpr_read_b32 v29, a121                               // 000000007A30: D3D8401D 18000179
	v_mul_f32_e32 v28, s47, v28                                // 000000007A38: 0A38382F
	v_mul_f32_e32 v29, s47, v29                                // 000000007A3C: 0A3A3A2F
	v_cvt_pkrtz_f16_f32 v68, v28, v29                          // 000000007A40: D2960044 00023B1C
	v_accvgpr_read_b32 v28, a122                               // 000000007A48: D3D8401C 1800017A
	v_accvgpr_read_b32 v29, a123                               // 000000007A50: D3D8401D 1800017B
	v_mul_f32_e32 v28, s47, v28                                // 000000007A58: 0A38382F
	v_mul_f32_e32 v29, s47, v29                                // 000000007A5C: 0A3A3A2F
	v_cvt_pkrtz_f16_f32 v69, v28, v29                          // 000000007A60: D2960045 00023B1C
	v_accvgpr_read_b32 v28, a124                               // 000000007A68: D3D8401C 1800017C
	v_accvgpr_read_b32 v29, a125                               // 000000007A70: D3D8401D 1800017D
	v_mul_f32_e32 v28, s47, v28                                // 000000007A78: 0A38382F
	v_mul_f32_e32 v29, s47, v29                                // 000000007A7C: 0A3A3A2F
	v_cvt_pkrtz_f16_f32 v70, v28, v29                          // 000000007A80: D2960046 00023B1C
	v_accvgpr_read_b32 v28, a126                               // 000000007A88: D3D8401C 1800017E
	v_accvgpr_read_b32 v29, a127                               // 000000007A90: D3D8401D 1800017F
	v_mul_f32_e32 v28, s47, v28                                // 000000007A98: 0A38382F
	v_mul_f32_e32 v29, s47, v29                                // 000000007A9C: 0A3A3A2F
	v_cvt_pkrtz_f16_f32 v71, v28, v29                          // 000000007AA0: D2960047 00023B1C
	v_accvgpr_read_b32 v28, a128                               // 000000007AA8: D3D8401C 18000180
	v_accvgpr_read_b32 v29, a129                               // 000000007AB0: D3D8401D 18000181
	v_mul_f32_e32 v28, s47, v28                                // 000000007AB8: 0A38382F
	v_mul_f32_e32 v29, s47, v29                                // 000000007ABC: 0A3A3A2F
	v_cvt_pkrtz_f16_f32 v72, v28, v29                          // 000000007AC0: D2960048 00023B1C
	v_accvgpr_read_b32 v28, a130                               // 000000007AC8: D3D8401C 18000182
	v_accvgpr_read_b32 v29, a131                               // 000000007AD0: D3D8401D 18000183
	v_mul_f32_e32 v28, s47, v28                                // 000000007AD8: 0A38382F
	v_mul_f32_e32 v29, s47, v29                                // 000000007ADC: 0A3A3A2F
	v_cvt_pkrtz_f16_f32 v73, v28, v29                          // 000000007AE0: D2960049 00023B1C
	v_accvgpr_read_b32 v28, a132                               // 000000007AE8: D3D8401C 18000184
	v_accvgpr_read_b32 v29, a133                               // 000000007AF0: D3D8401D 18000185
	v_mul_f32_e32 v28, s47, v28                                // 000000007AF8: 0A38382F
	v_mul_f32_e32 v29, s47, v29                                // 000000007AFC: 0A3A3A2F
	v_cvt_pkrtz_f16_f32 v74, v28, v29                          // 000000007B00: D296004A 00023B1C
	v_accvgpr_read_b32 v28, a134                               // 000000007B08: D3D8401C 18000186
	v_accvgpr_read_b32 v29, a135                               // 000000007B10: D3D8401D 18000187
	v_mul_f32_e32 v28, s47, v28                                // 000000007B18: 0A38382F
	v_mul_f32_e32 v29, s47, v29                                // 000000007B1C: 0A3A3A2F
	v_cvt_pkrtz_f16_f32 v75, v28, v29                          // 000000007B20: D296004B 00023B1C
	v_accvgpr_read_b32 v28, a136                               // 000000007B28: D3D8401C 18000188
	v_accvgpr_read_b32 v29, a137                               // 000000007B30: D3D8401D 18000189
	v_mul_f32_e32 v28, s47, v28                                // 000000007B38: 0A38382F
	v_mul_f32_e32 v29, s47, v29                                // 000000007B3C: 0A3A3A2F
	v_cvt_pkrtz_f16_f32 v76, v28, v29                          // 000000007B40: D296004C 00023B1C
	v_accvgpr_read_b32 v28, a138                               // 000000007B48: D3D8401C 1800018A
	v_accvgpr_read_b32 v29, a139                               // 000000007B50: D3D8401D 1800018B
	v_mul_f32_e32 v28, s47, v28                                // 000000007B58: 0A38382F
	v_mul_f32_e32 v29, s47, v29                                // 000000007B5C: 0A3A3A2F
	v_cvt_pkrtz_f16_f32 v77, v28, v29                          // 000000007B60: D296004D 00023B1C
	v_accvgpr_read_b32 v28, a140                               // 000000007B68: D3D8401C 1800018C
	v_accvgpr_read_b32 v29, a141                               // 000000007B70: D3D8401D 1800018D
	v_mul_f32_e32 v28, s47, v28                                // 000000007B78: 0A38382F
	v_mul_f32_e32 v29, s47, v29                                // 000000007B7C: 0A3A3A2F
	v_cvt_pkrtz_f16_f32 v78, v28, v29                          // 000000007B80: D296004E 00023B1C
	v_accvgpr_read_b32 v28, a142                               // 000000007B88: D3D8401C 1800018E
	v_accvgpr_read_b32 v29, a143                               // 000000007B90: D3D8401D 1800018F
	v_mul_f32_e32 v28, s47, v28                                // 000000007B98: 0A38382F
	v_mul_f32_e32 v29, s47, v29                                // 000000007B9C: 0A3A3A2F
	v_cvt_pkrtz_f16_f32 v79, v28, v29                          // 000000007BA0: D296004F 00023B1C
	ds_write_b64 v25, v[56:57]                                 // 000000007BA8: D89A0000 00003819
	ds_write_b64 v25, v[58:59] offset:544                      // 000000007BB0: D89A0220 00003A19
	ds_write_b64 v25, v[60:61] offset:1088                     // 000000007BB8: D89A0440 00003C19
	ds_write_b64 v25, v[62:63] offset:1632                     // 000000007BC0: D89A0660 00003E19
	ds_write_b64 v25, v[64:65] offset:2176                     // 000000007BC8: D89A0880 00004019
	ds_write_b64 v25, v[66:67] offset:2720                     // 000000007BD0: D89A0AA0 00004219
	ds_write_b64 v25, v[68:69] offset:3264                     // 000000007BD8: D89A0CC0 00004419
	ds_write_b64 v25, v[70:71] offset:3808                     // 000000007BE0: D89A0EE0 00004619
	ds_write_b64 v25, v[72:73] offset:4352                     // 000000007BE8: D89A1100 00004819
	ds_write_b64 v25, v[74:75] offset:4896                     // 000000007BF0: D89A1320 00004A19
	ds_write_b64 v25, v[76:77] offset:5440                     // 000000007BF8: D89A1540 00004C19
	ds_write_b64 v25, v[78:79] offset:5984                     // 000000007C00: D89A1760 00004E19
	s_waitcnt lgkmcnt(0)                                       // 000000007C08: BF8CC07F
	s_barrier                                                  // 000000007C0C: BF8A0000
	ds_read_b64 v[56:57], v24                                  // 000000007C10: D8EC0000 38000018
	ds_read_b64 v[58:59], v24 offset:128                       // 000000007C18: D8EC0080 3A000018
	ds_read_b64 v[60:61], v24 offset:64                        // 000000007C20: D8EC0040 3C000018
	ds_read_b64 v[62:63], v24 offset:192                       // 000000007C28: D8EC00C0 3E000018
	ds_read_b64 v[64:65], v24 offset:2176                      // 000000007C30: D8EC0880 40000018
	ds_read_b64 v[66:67], v24 offset:2304                      // 000000007C38: D8EC0900 42000018
	ds_read_b64 v[68:69], v24 offset:2240                      // 000000007C40: D8EC08C0 44000018
	ds_read_b64 v[70:71], v24 offset:2368                      // 000000007C48: D8EC0940 46000018
	ds_read_b64 v[72:73], v24 offset:4352                      // 000000007C50: D8EC1100 48000018
	ds_read_b64 v[74:75], v24 offset:4480                      // 000000007C58: D8EC1180 4A000018
	ds_read_b64 v[76:77], v24 offset:4416                      // 000000007C60: D8EC1140 4C000018
	ds_read_b64 v[78:79], v24 offset:4544                      // 000000007C68: D8EC11C0 4E000018
	s_waitcnt lgkmcnt(0)                                       // 000000007C70: BF8CC07F
	buffer_store_dwordx4 v[56:59], v3, s[36:39], 0 idxen       // 000000007C74: E07C2000 80093803
	v_add_u32_e32 v3, 32, v3                                   // 000000007C7C: 680606A0
	buffer_store_dwordx4 v[60:63], v4, s[36:39], 0 idxen       // 000000007C80: E07C2000 80093C04
	v_add_u32_e32 v4, 32, v4                                   // 000000007C88: 680808A0
	buffer_store_dwordx4 v[64:67], v3, s[36:39], 0 idxen       // 000000007C8C: E07C2000 80094003
	v_add_u32_e32 v3, 32, v3                                   // 000000007C94: 680606A0
	buffer_store_dwordx4 v[68:71], v4, s[36:39], 0 idxen       // 000000007C98: E07C2000 80094404
	v_add_u32_e32 v4, 32, v4                                   // 000000007CA0: 680808A0
	s_mov_b64 exec, s[80:81]                                   // 000000007CA4: BEFE0150
	buffer_store_dwordx4 v[72:75], v3, s[36:39], 0 idxen       // 000000007CA8: E07C2000 80094803
	s_mov_b32 exec_lo, -1                                      // 000000007CB0: BEFE00C1
	s_mov_b32 exec_hi, -1                                      // 000000007CB4: BEFF00C1
	v_add_u32_e32 v3, 32, v3                                   // 000000007CB8: 680606A0
	s_mov_b64 exec, s[80:81]                                   // 000000007CBC: BEFE0150
	buffer_store_dwordx4 v[76:79], v4, s[36:39], 0 idxen       // 000000007CC0: E07C2000 80094C04
	s_mov_b32 exec_lo, -1                                      // 000000007CC8: BEFE00C1
	s_mov_b32 exec_hi, -1                                      // 000000007CCC: BEFF00C1
	v_add_u32_e32 v4, 32, v4                                   // 000000007CD0: 680808A0
	s_barrier                                                  // 000000007CD4: BF8A0000
	v_mov_b32_e32 v28, v160                                    // 000000007CD8: 7E3803A0
	v_mov_b32_e32 v29, v161                                    // 000000007CDC: 7E3A03A1
	v_cvt_pkrtz_f16_f32 v160, v28, v29                         // 000000007CE0: D29600A0 00023B1C
	v_mov_b32_e32 v28, v162                                    // 000000007CE8: 7E3803A2
	v_mov_b32_e32 v29, v163                                    // 000000007CEC: 7E3A03A3
	v_cvt_pkrtz_f16_f32 v161, v28, v29                         // 000000007CF0: D29600A1 00023B1C
	v_mov_b32_e32 v28, v164                                    // 000000007CF8: 7E3803A4
	v_mov_b32_e32 v29, v165                                    // 000000007CFC: 7E3A03A5
	v_cvt_pkrtz_f16_f32 v162, v28, v29                         // 000000007D00: D29600A2 00023B1C
	v_mov_b32_e32 v28, v166                                    // 000000007D08: 7E3803A6
	v_mov_b32_e32 v29, v167                                    // 000000007D0C: 7E3A03A7
	v_cvt_pkrtz_f16_f32 v163, v28, v29                         // 000000007D10: D29600A3 00023B1C
	v_mov_b32_e32 v28, v168                                    // 000000007D18: 7E3803A8
	v_mov_b32_e32 v29, v169                                    // 000000007D1C: 7E3A03A9
	v_cvt_pkrtz_f16_f32 v164, v28, v29                         // 000000007D20: D29600A4 00023B1C
	v_mov_b32_e32 v28, v170                                    // 000000007D28: 7E3803AA
	v_mov_b32_e32 v29, v171                                    // 000000007D2C: 7E3A03AB
	v_cvt_pkrtz_f16_f32 v165, v28, v29                         // 000000007D30: D29600A5 00023B1C
	v_mov_b32_e32 v28, v172                                    // 000000007D38: 7E3803AC
	v_mov_b32_e32 v29, v173                                    // 000000007D3C: 7E3A03AD
	v_cvt_pkrtz_f16_f32 v166, v28, v29                         // 000000007D40: D29600A6 00023B1C
	v_mov_b32_e32 v28, v174                                    // 000000007D48: 7E3803AE
	v_mov_b32_e32 v29, v175                                    // 000000007D4C: 7E3A03AF
	v_cvt_pkrtz_f16_f32 v167, v28, v29                         // 000000007D50: D29600A7 00023B1C
	v_mov_b32_e32 v28, v176                                    // 000000007D58: 7E3803B0
	v_mov_b32_e32 v29, v177                                    // 000000007D5C: 7E3A03B1
	v_cvt_pkrtz_f16_f32 v168, v28, v29                         // 000000007D60: D29600A8 00023B1C
	v_mov_b32_e32 v28, v178                                    // 000000007D68: 7E3803B2
	v_mov_b32_e32 v29, v179                                    // 000000007D6C: 7E3A03B3
	v_cvt_pkrtz_f16_f32 v169, v28, v29                         // 000000007D70: D29600A9 00023B1C
	v_mov_b32_e32 v28, v180                                    // 000000007D78: 7E3803B4
	v_mov_b32_e32 v29, v181                                    // 000000007D7C: 7E3A03B5
	v_cvt_pkrtz_f16_f32 v170, v28, v29                         // 000000007D80: D29600AA 00023B1C
	v_mov_b32_e32 v28, v182                                    // 000000007D88: 7E3803B6
	v_mov_b32_e32 v29, v183                                    // 000000007D8C: 7E3A03B7
	v_cvt_pkrtz_f16_f32 v171, v28, v29                         // 000000007D90: D29600AB 00023B1C
	v_mov_b32_e32 v28, v184                                    // 000000007D98: 7E3803B8
	v_mov_b32_e32 v29, v185                                    // 000000007D9C: 7E3A03B9
	v_cvt_pkrtz_f16_f32 v172, v28, v29                         // 000000007DA0: D29600AC 00023B1C
	v_mov_b32_e32 v28, v186                                    // 000000007DA8: 7E3803BA
	v_mov_b32_e32 v29, v187                                    // 000000007DAC: 7E3A03BB
	v_cvt_pkrtz_f16_f32 v173, v28, v29                         // 000000007DB0: D29600AD 00023B1C
	v_mov_b32_e32 v28, v188                                    // 000000007DB8: 7E3803BC
	v_mov_b32_e32 v29, v189                                    // 000000007DBC: 7E3A03BD
	v_cvt_pkrtz_f16_f32 v174, v28, v29                         // 000000007DC0: D29600AE 00023B1C
	v_mov_b32_e32 v28, v190                                    // 000000007DC8: 7E3803BE
	v_mov_b32_e32 v29, v191                                    // 000000007DCC: 7E3A03BF
	v_cvt_pkrtz_f16_f32 v175, v28, v29                         // 000000007DD0: D29600AF 00023B1C
	v_mov_b32_e32 v28, v192                                    // 000000007DD8: 7E3803C0
	v_mov_b32_e32 v29, v193                                    // 000000007DDC: 7E3A03C1
	v_cvt_pkrtz_f16_f32 v176, v28, v29                         // 000000007DE0: D29600B0 00023B1C
	v_mov_b32_e32 v28, v194                                    // 000000007DE8: 7E3803C2
	v_mov_b32_e32 v29, v195                                    // 000000007DEC: 7E3A03C3
	v_cvt_pkrtz_f16_f32 v177, v28, v29                         // 000000007DF0: D29600B1 00023B1C
	v_mov_b32_e32 v28, v196                                    // 000000007DF8: 7E3803C4
	v_mov_b32_e32 v29, v197                                    // 000000007DFC: 7E3A03C5
	v_cvt_pkrtz_f16_f32 v178, v28, v29                         // 000000007E00: D29600B2 00023B1C
	v_mov_b32_e32 v28, v198                                    // 000000007E08: 7E3803C6
	v_mov_b32_e32 v29, v199                                    // 000000007E0C: 7E3A03C7
	v_cvt_pkrtz_f16_f32 v179, v28, v29                         // 000000007E10: D29600B3 00023B1C
	v_mov_b32_e32 v28, v200                                    // 000000007E18: 7E3803C8
	v_mov_b32_e32 v29, v201                                    // 000000007E1C: 7E3A03C9
	v_cvt_pkrtz_f16_f32 v180, v28, v29                         // 000000007E20: D29600B4 00023B1C
	v_mov_b32_e32 v28, v202                                    // 000000007E28: 7E3803CA
	v_mov_b32_e32 v29, v203                                    // 000000007E2C: 7E3A03CB
	v_cvt_pkrtz_f16_f32 v181, v28, v29                         // 000000007E30: D29600B5 00023B1C
	v_mov_b32_e32 v28, v204                                    // 000000007E38: 7E3803CC
	v_mov_b32_e32 v29, v205                                    // 000000007E3C: 7E3A03CD
	v_cvt_pkrtz_f16_f32 v182, v28, v29                         // 000000007E40: D29600B6 00023B1C
	v_mov_b32_e32 v28, v206                                    // 000000007E48: 7E3803CE
	v_mov_b32_e32 v29, v207                                    // 000000007E4C: 7E3A03CF
	v_cvt_pkrtz_f16_f32 v183, v28, v29                         // 000000007E50: D29600B7 00023B1C
	ds_write_b64 v25, v[160:161]                               // 000000007E58: D89A0000 0000A019
	ds_write_b64 v25, v[162:163] offset:544                    // 000000007E60: D89A0220 0000A219
	ds_write_b64 v25, v[164:165] offset:1088                   // 000000007E68: D89A0440 0000A419
	ds_write_b64 v25, v[166:167] offset:1632                   // 000000007E70: D89A0660 0000A619
	ds_write_b64 v25, v[168:169] offset:2176                   // 000000007E78: D89A0880 0000A819
	ds_write_b64 v25, v[170:171] offset:2720                   // 000000007E80: D89A0AA0 0000AA19
	ds_write_b64 v25, v[172:173] offset:3264                   // 000000007E88: D89A0CC0 0000AC19
	ds_write_b64 v25, v[174:175] offset:3808                   // 000000007E90: D89A0EE0 0000AE19
	ds_write_b64 v25, v[176:177] offset:4352                   // 000000007E98: D89A1100 0000B019
	ds_write_b64 v25, v[178:179] offset:4896                   // 000000007EA0: D89A1320 0000B219
	ds_write_b64 v25, v[180:181] offset:5440                   // 000000007EA8: D89A1540 0000B419
	ds_write_b64 v25, v[182:183] offset:5984                   // 000000007EB0: D89A1760 0000B619
	s_waitcnt lgkmcnt(0)                                       // 000000007EB8: BF8CC07F
	s_barrier                                                  // 000000007EBC: BF8A0000
	ds_read_b64 v[160:161], v24                                // 000000007EC0: D8EC0000 A0000018
	ds_read_b64 v[162:163], v24 offset:128                     // 000000007EC8: D8EC0080 A2000018
	ds_read_b64 v[164:165], v24 offset:64                      // 000000007ED0: D8EC0040 A4000018
	ds_read_b64 v[166:167], v24 offset:192                     // 000000007ED8: D8EC00C0 A6000018
	ds_read_b64 v[168:169], v24 offset:2176                    // 000000007EE0: D8EC0880 A8000018
	ds_read_b64 v[170:171], v24 offset:2304                    // 000000007EE8: D8EC0900 AA000018
	ds_read_b64 v[172:173], v24 offset:2240                    // 000000007EF0: D8EC08C0 AC000018
	ds_read_b64 v[174:175], v24 offset:2368                    // 000000007EF8: D8EC0940 AE000018
	ds_read_b64 v[176:177], v24 offset:4352                    // 000000007F00: D8EC1100 B0000018
	ds_read_b64 v[178:179], v24 offset:4480                    // 000000007F08: D8EC1180 B2000018
	ds_read_b64 v[180:181], v24 offset:4416                    // 000000007F10: D8EC1140 B4000018
	ds_read_b64 v[182:183], v24 offset:4544                    // 000000007F18: D8EC11C0 B6000018
	s_waitcnt lgkmcnt(0)                                       // 000000007F20: BF8CC07F
	buffer_store_dwordx4 v[160:163], v5, s[40:43], 0 idxen     // 000000007F24: E07C2000 800AA005
	v_add_u32_e32 v5, 32, v5                                   // 000000007F2C: 680A0AA0
	buffer_store_dwordx4 v[164:167], v6, s[40:43], 0 idxen     // 000000007F30: E07C2000 800AA406
	v_add_u32_e32 v6, 32, v6                                   // 000000007F38: 680C0CA0
	buffer_store_dwordx4 v[168:171], v5, s[40:43], 0 idxen     // 000000007F3C: E07C2000 800AA805
	v_add_u32_e32 v5, 32, v5                                   // 000000007F44: 680A0AA0
	buffer_store_dwordx4 v[172:175], v6, s[40:43], 0 idxen     // 000000007F48: E07C2000 800AAC06
	v_add_u32_e32 v6, 32, v6                                   // 000000007F50: 680C0CA0
	s_mov_b64 exec, s[80:81]                                   // 000000007F54: BEFE0150
	buffer_store_dwordx4 v[176:179], v5, s[40:43], 0 idxen     // 000000007F58: E07C2000 800AB005
	s_mov_b32 exec_lo, -1                                      // 000000007F60: BEFE00C1
	s_mov_b32 exec_hi, -1                                      // 000000007F64: BEFF00C1
	v_add_u32_e32 v5, 32, v5                                   // 000000007F68: 680A0AA0
	s_mov_b64 exec, s[80:81]                                   // 000000007F6C: BEFE0150
	buffer_store_dwordx4 v[180:183], v6, s[40:43], 0 idxen     // 000000007F70: E07C2000 800AB406
	s_mov_b32 exec_lo, -1                                      // 000000007F78: BEFE00C1
	s_mov_b32 exec_hi, -1                                      // 000000007F7C: BEFF00C1
	v_add_u32_e32 v6, 32, v6                                   // 000000007F80: 680C0CA0
	s_waitcnt vmcnt(0) expcnt(0) lgkmcnt(0)                    // 000000007F84: BF8C0000
	s_sub_i32 s60, s77, 1                                      // 000000007F88: 81BC814D
	s_sub_i32 s2, s60, s2                                      // 000000007F8C: 8182023C
	s_addk_i32 s75, 0x1                                        // 000000007F90: B74B0001
	s_cmp_lt_i32 s75, s76                                      // 000000007F94: BF044C4B
	s_cbranch_scc1 label_015B                                  // 000000007F98: BF85F0F4

0000000000007f9c <label_1067>:
	s_waitcnt vmcnt(0) expcnt(0) lgkmcnt(0)                    // 000000007F9C: BF8C0000
	s_endpgm                                                   // 000000007FA0: BF810000
